;; amdgpu-corpus repo=ROCm/rocFFT kind=compiled arch=gfx950 opt=O3
	.text
	.amdgcn_target "amdgcn-amd-amdhsa--gfx950"
	.amdhsa_code_object_version 6
	.protected	bluestein_single_back_len286_dim1_dp_op_CI_CI ; -- Begin function bluestein_single_back_len286_dim1_dp_op_CI_CI
	.globl	bluestein_single_back_len286_dim1_dp_op_CI_CI
	.p2align	8
	.type	bluestein_single_back_len286_dim1_dp_op_CI_CI,@function
bluestein_single_back_len286_dim1_dp_op_CI_CI: ; @bluestein_single_back_len286_dim1_dp_op_CI_CI
; %bb.0:
	s_load_dwordx4 s[4:7], s[0:1], 0x28
	v_mul_u32_u24_e32 v1, 0x9d9, v0
	v_lshrrev_b32_e32 v1, 16, v1
	v_mov_b32_e32 v145, 0
	v_lshl_add_u32 v146, s2, 1, v1
	v_mov_b32_e32 v147, v145
	s_waitcnt lgkmcnt(0)
	v_cmp_gt_u64_e32 vcc, s[4:5], v[146:147]
	s_and_saveexec_b64 s[2:3], vcc
	s_cbranch_execz .LBB0_23
; %bb.1:
	s_load_dwordx2 s[12:13], s[0:1], 0x0
	s_load_dwordx2 s[14:15], s[0:1], 0x38
	v_mul_lo_u16_e32 v2, 26, v1
	v_sub_u16_e32 v144, v0, v2
	v_and_b32_e32 v0, 1, v1
	v_mov_b32_e32 v1, 0x11e
	v_cmp_eq_u32_e32 vcc, 1, v0
	v_cmp_gt_u16_e64 s[4:5], 22, v144
	v_lshlrev_b32_e32 v148, 4, v144
	v_cndmask_b32_e32 v147, 0, v1, vcc
	v_lshlrev_b32_e32 v246, 4, v147
	s_and_saveexec_b64 s[2:3], s[4:5]
	s_cbranch_execz .LBB0_3
; %bb.2:
	s_load_dwordx2 s[8:9], s[0:1], 0x18
	v_mov_b32_e32 v0, s6
	v_mov_b32_e32 v1, s7
	;; [unrolled: 1-line block ×4, first 2 shown]
	s_waitcnt lgkmcnt(0)
	s_load_dwordx4 s[8:11], s[8:9], 0x0
	v_lshl_add_u64 v[86:87], s[12:13], 0, v[148:149]
	v_lshl_add_u32 v110, v144, 4, v246
	v_add_u32_e32 v111, v246, v148
	s_waitcnt lgkmcnt(0)
	v_mad_u64_u32 v[2:3], s[6:7], s10, v146, 0
	v_mad_u64_u32 v[4:5], s[6:7], s8, v144, 0
	v_mov_b32_e32 v6, v3
	v_mov_b32_e32 v8, v5
	v_mad_u64_u32 v[6:7], s[6:7], s11, v146, v[6:7]
	v_mov_b32_e32 v3, v6
	v_mad_u64_u32 v[6:7], s[6:7], s9, v144, v[8:9]
	v_mov_b32_e32 v5, v6
	v_lshl_add_u64 v[0:1], v[2:3], 4, v[0:1]
	v_lshl_add_u64 v[8:9], v[4:5], 4, v[0:1]
	v_mad_u64_u32 v[24:25], s[6:7], s8, v104, v[8:9]
	s_mul_i32 s6, s9, 0x160
	s_nop 0
	v_add_u32_e32 v25, s6, v25
	global_load_dwordx4 v[0:3], v[8:9], off
	global_load_dwordx4 v[4:7], v148, s[12:13]
	v_mad_u64_u32 v[40:41], s[10:11], s8, v104, v[24:25]
	v_add_u32_e32 v41, s6, v41
	global_load_dwordx4 v[8:11], v148, s[12:13] offset:352
	global_load_dwordx4 v[12:15], v148, s[12:13] offset:704
	global_load_dwordx4 v[20:23], v[24:25], off
	global_load_dwordx4 v[16:19], v[40:41], off
	v_mad_u64_u32 v[40:41], s[10:11], s8, v104, v[40:41]
	v_add_u32_e32 v41, s6, v41
	global_load_dwordx4 v[24:27], v148, s[12:13] offset:1056
	global_load_dwordx4 v[28:31], v148, s[12:13] offset:1408
	;; [unrolled: 1-line block ×6, first 2 shown]
	global_load_dwordx4 v[50:53], v[40:41], off
	global_load_dwordx4 v[54:57], v148, s[12:13] offset:3168
	global_load_dwordx4 v[58:61], v148, s[12:13] offset:3520
	v_mad_u64_u32 v[40:41], s[10:11], s8, v104, v[40:41]
	v_add_u32_e32 v41, s6, v41
	global_load_dwordx4 v[62:65], v[40:41], off
	v_mad_u64_u32 v[40:41], s[10:11], s8, v104, v[40:41]
	v_add_u32_e32 v41, s6, v41
	global_load_dwordx4 v[66:69], v[40:41], off
	;; [unrolled: 3-line block ×5, first 2 shown]
	v_mad_u64_u32 v[40:41], s[10:11], s8, v104, v[40:41]
	v_add_u32_e32 v41, s6, v41
	s_movk_i32 s7, 0x1000
	global_load_dwordx4 v[82:85], v[40:41], off
	v_mad_u64_u32 v[40:41], s[10:11], s8, v104, v[40:41]
	v_add_co_u32_e32 v102, vcc, s7, v86
	v_add_u32_e32 v41, s6, v41
	s_nop 0
	v_addc_co_u32_e32 v103, vcc, 0, v87, vcc
	global_load_dwordx4 v[86:89], v[40:41], off
	global_load_dwordx4 v[90:93], v148, s[12:13] offset:3872
	v_mad_u64_u32 v[40:41], s[10:11], s8, v104, v[40:41]
	v_add_u32_e32 v41, s6, v41
	global_load_dwordx4 v[94:97], v[40:41], off
	global_load_dwordx4 v[98:101], v[102:103], off offset:128
	v_mad_u64_u32 v[40:41], s[8:9], s8, v104, v[40:41]
	v_add_u32_e32 v41, s6, v41
	global_load_dwordx4 v[102:105], v[40:41], off
	s_waitcnt vmcnt(24)
	v_mul_f64 v[106:107], v[2:3], v[6:7]
	v_mul_f64 v[40:41], v[0:1], v[6:7]
	v_fmac_f64_e32 v[106:107], v[0:1], v[4:5]
	s_waitcnt vmcnt(21)
	v_mul_f64 v[0:1], v[22:23], v[10:11]
	v_fma_f64 v[108:109], v[2:3], v[4:5], -v[40:41]
	v_mul_f64 v[2:3], v[20:21], v[10:11]
	v_fmac_f64_e32 v[0:1], v[20:21], v[8:9]
	s_waitcnt vmcnt(20)
	v_mul_f64 v[6:7], v[16:17], v[14:15]
	v_mul_f64 v[4:5], v[18:19], v[14:15]
	v_fma_f64 v[2:3], v[22:23], v[8:9], -v[2:3]
	v_fma_f64 v[6:7], v[18:19], v[12:13], -v[6:7]
	v_fmac_f64_e32 v[4:5], v[16:17], v[12:13]
	ds_write_b128 v110, v[106:109]
	ds_write_b128 v111, v[0:3] offset:352
	ds_write_b128 v111, v[4:7] offset:704
	s_waitcnt vmcnt(13)
	v_mul_f64 v[0:1], v[50:51], v[26:27]
	v_fma_f64 v[2:3], v[52:53], v[24:25], -v[0:1]
	v_mul_f64 v[0:1], v[52:53], v[26:27]
	v_fmac_f64_e32 v[0:1], v[50:51], v[24:25]
	ds_write_b128 v111, v[0:3] offset:1056
	s_waitcnt vmcnt(10)
	v_mul_f64 v[0:1], v[64:65], v[30:31]
	v_mul_f64 v[2:3], v[62:63], v[30:31]
	v_fmac_f64_e32 v[0:1], v[62:63], v[28:29]
	v_fma_f64 v[2:3], v[64:65], v[28:29], -v[2:3]
	ds_write_b128 v111, v[0:3] offset:1408
	s_waitcnt vmcnt(9)
	v_mul_f64 v[0:1], v[68:69], v[34:35]
	v_mul_f64 v[2:3], v[66:67], v[34:35]
	v_fmac_f64_e32 v[0:1], v[66:67], v[32:33]
	v_fma_f64 v[2:3], v[68:69], v[32:33], -v[2:3]
	ds_write_b128 v111, v[0:3] offset:1760
	s_waitcnt vmcnt(8)
	v_mul_f64 v[0:1], v[72:73], v[38:39]
	v_mul_f64 v[2:3], v[70:71], v[38:39]
	v_fmac_f64_e32 v[0:1], v[70:71], v[36:37]
	v_fma_f64 v[2:3], v[72:73], v[36:37], -v[2:3]
	ds_write_b128 v111, v[0:3] offset:2112
	s_waitcnt vmcnt(7)
	v_mul_f64 v[0:1], v[76:77], v[44:45]
	v_mul_f64 v[2:3], v[74:75], v[44:45]
	v_fmac_f64_e32 v[0:1], v[74:75], v[42:43]
	v_fma_f64 v[2:3], v[76:77], v[42:43], -v[2:3]
	ds_write_b128 v111, v[0:3] offset:2464
	s_waitcnt vmcnt(6)
	v_mul_f64 v[0:1], v[80:81], v[48:49]
	v_mul_f64 v[2:3], v[78:79], v[48:49]
	v_fmac_f64_e32 v[0:1], v[78:79], v[46:47]
	v_fma_f64 v[2:3], v[80:81], v[46:47], -v[2:3]
	ds_write_b128 v111, v[0:3] offset:2816
	s_waitcnt vmcnt(5)
	v_mul_f64 v[0:1], v[84:85], v[56:57]
	v_mul_f64 v[2:3], v[82:83], v[56:57]
	v_fmac_f64_e32 v[0:1], v[82:83], v[54:55]
	v_fma_f64 v[2:3], v[84:85], v[54:55], -v[2:3]
	ds_write_b128 v111, v[0:3] offset:3168
	s_waitcnt vmcnt(4)
	v_mul_f64 v[0:1], v[88:89], v[60:61]
	v_mul_f64 v[2:3], v[86:87], v[60:61]
	v_fmac_f64_e32 v[0:1], v[86:87], v[58:59]
	v_fma_f64 v[2:3], v[88:89], v[58:59], -v[2:3]
	ds_write_b128 v111, v[0:3] offset:3520
	s_waitcnt vmcnt(2)
	v_mul_f64 v[0:1], v[96:97], v[92:93]
	v_mul_f64 v[2:3], v[94:95], v[92:93]
	v_fmac_f64_e32 v[0:1], v[94:95], v[90:91]
	v_fma_f64 v[2:3], v[96:97], v[90:91], -v[2:3]
	ds_write_b128 v111, v[0:3] offset:3872
	s_waitcnt vmcnt(0)
	v_mul_f64 v[0:1], v[104:105], v[100:101]
	v_mul_f64 v[2:3], v[102:103], v[100:101]
	v_fmac_f64_e32 v[0:1], v[102:103], v[98:99]
	v_fma_f64 v[2:3], v[104:105], v[98:99], -v[2:3]
	ds_write_b128 v111, v[0:3] offset:4224
.LBB0_3:
	s_or_b64 exec, exec, s[2:3]
	s_load_dwordx2 s[2:3], s[0:1], 0x20
	s_load_dwordx2 s[6:7], s[0:1], 0x8
	s_waitcnt lgkmcnt(0)
	; wave barrier
	s_waitcnt lgkmcnt(0)
                                        ; implicit-def: $vgpr4_vgpr5
                                        ; implicit-def: $vgpr8_vgpr9
                                        ; implicit-def: $vgpr12_vgpr13
                                        ; implicit-def: $vgpr16_vgpr17
                                        ; implicit-def: $vgpr20_vgpr21
                                        ; implicit-def: $vgpr24_vgpr25
                                        ; implicit-def: $vgpr28_vgpr29
                                        ; implicit-def: $vgpr32_vgpr33
                                        ; implicit-def: $vgpr36_vgpr37
                                        ; implicit-def: $vgpr40_vgpr41
                                        ; implicit-def: $vgpr44_vgpr45
                                        ; implicit-def: $vgpr48_vgpr49
                                        ; implicit-def: $vgpr52_vgpr53
	s_and_saveexec_b64 s[0:1], s[4:5]
	s_cbranch_execz .LBB0_5
; %bb.4:
	v_lshlrev_b32_e32 v0, 4, v144
	v_lshl_add_u32 v0, v147, 4, v0
	ds_read_b128 v[4:7], v0
	ds_read_b128 v[8:11], v0 offset:352
	ds_read_b128 v[12:15], v0 offset:704
	ds_read_b128 v[16:19], v0 offset:1056
	ds_read_b128 v[20:23], v0 offset:1408
	ds_read_b128 v[24:27], v0 offset:1760
	ds_read_b128 v[28:31], v0 offset:2112
	ds_read_b128 v[32:35], v0 offset:2464
	ds_read_b128 v[36:39], v0 offset:2816
	ds_read_b128 v[40:43], v0 offset:3168
	ds_read_b128 v[44:47], v0 offset:3520
	ds_read_b128 v[48:51], v0 offset:3872
	ds_read_b128 v[52:55], v0 offset:4224
.LBB0_5:
	s_or_b64 exec, exec, s[0:1]
	s_mov_b32 s24, 0x4267c47c
	s_waitcnt lgkmcnt(0)
	v_add_f64 v[110:111], v[10:11], -v[54:55]
	s_mov_b32 s0, 0xe00740e9
	s_mov_b32 s25, 0xbfddbe06
	;; [unrolled: 1-line block ×3, first 2 shown]
	v_add_f64 v[86:87], v[8:9], v[52:53]
	v_add_f64 v[104:105], v[8:9], -v[52:53]
	s_mov_b32 s1, 0x3fec55a7
	v_mul_f64 v[80:81], v[110:111], s[24:25]
	s_mov_b32 s8, 0x1ea71119
	s_mov_b32 s21, 0xbfea55e2
	v_add_f64 v[128:129], v[14:15], -v[50:51]
	v_add_f64 v[88:89], v[10:11], v[54:55]
	v_mul_f64 v[82:83], v[104:105], s[24:25]
	v_fma_f64 v[0:1], s[0:1], v[86:87], v[80:81]
	s_mov_b32 s9, 0x3fe22d96
	v_add_f64 v[92:93], v[12:13], v[48:49]
	v_add_f64 v[114:115], v[12:13], -v[48:49]
	v_mul_f64 v[84:85], v[128:129], s[20:21]
	s_mov_b32 s26, 0x66966769
	v_add_f64 v[0:1], v[4:5], v[0:1]
	v_fma_f64 v[2:3], v[88:89], s[0:1], -v[82:83]
	v_add_f64 v[94:95], v[14:15], v[50:51]
	v_mul_f64 v[90:91], v[114:115], s[20:21]
	v_fma_f64 v[56:57], s[8:9], v[92:93], v[84:85]
	v_add_f64 v[136:137], v[18:19], -v[46:47]
	s_mov_b32 s10, 0xebaa3ed8
	s_mov_b32 s27, 0xbfefc445
	v_add_f64 v[2:3], v[6:7], v[2:3]
	v_add_f64 v[0:1], v[56:57], v[0:1]
	v_fma_f64 v[56:57], v[94:95], s[8:9], -v[90:91]
	v_add_f64 v[100:101], v[16:17], v[44:45]
	v_add_f64 v[122:123], v[16:17], -v[44:45]
	s_mov_b32 s11, 0x3fbedb7d
	v_mul_f64 v[96:97], v[136:137], s[26:27]
	s_mov_b32 s34, 0x2ef20147
	v_add_f64 v[2:3], v[56:57], v[2:3]
	v_add_f64 v[102:103], v[18:19], v[46:47]
	v_fma_f64 v[56:57], s[10:11], v[100:101], v[96:97]
	v_mul_f64 v[98:99], v[122:123], s[26:27]
	s_mov_b32 s18, 0xb2365da1
	s_mov_b32 s35, 0xbfedeba7
	v_add_f64 v[154:155], v[22:23], -v[42:43]
	v_add_f64 v[0:1], v[56:57], v[0:1]
	v_fma_f64 v[56:57], v[102:103], s[10:11], -v[98:99]
	s_mov_b32 s19, 0xbfd6b1d8
	v_add_f64 v[112:113], v[20:21], v[40:41]
	v_mul_f64 v[106:107], v[154:155], s[34:35]
	v_add_f64 v[150:151], v[20:21], -v[40:41]
	s_mov_b32 s30, 0x24c2f84
	v_add_f64 v[2:3], v[56:57], v[2:3]
	v_fma_f64 v[56:57], s[18:19], v[112:113], v[106:107]
	v_add_f64 v[118:119], v[22:23], v[42:43]
	v_mul_f64 v[108:109], v[150:151], s[34:35]
	s_mov_b32 s22, 0xd0032e0c
	s_mov_b32 s31, 0x3fe5384d
	;; [unrolled: 1-line block ×4, first 2 shown]
	v_add_f64 v[170:171], v[26:27], -v[38:39]
	v_add_f64 v[0:1], v[56:57], v[0:1]
	v_fma_f64 v[56:57], v[118:119], s[18:19], -v[108:109]
	s_mov_b32 s23, 0xbfe7f3cc
	v_add_f64 v[126:127], v[24:25], v[36:37]
	v_mul_f64 v[116:117], v[170:171], s[36:37]
	v_add_f64 v[166:167], v[24:25], -v[36:37]
	s_mov_b32 s38, 0x4bc48dbf
	v_add_f64 v[2:3], v[56:57], v[2:3]
	v_fma_f64 v[56:57], s[22:23], v[126:127], v[116:117]
	v_add_f64 v[130:131], v[26:27], v[38:39]
	v_mul_f64 v[120:121], v[166:167], s[36:37]
	s_mov_b32 s28, 0x93053d00
	s_mov_b32 s39, 0xbfcea1e5
	v_add_f64 v[178:179], v[30:31], -v[34:35]
	v_add_f64 v[0:1], v[56:57], v[0:1]
	v_fma_f64 v[56:57], v[130:131], s[22:23], -v[120:121]
	s_mov_b32 s29, 0xbfef11f4
	v_add_f64 v[134:135], v[28:29], v[32:33]
	v_mul_f64 v[124:125], v[178:179], s[38:39]
	v_add_f64 v[176:177], v[28:29], -v[32:33]
	v_add_f64 v[2:3], v[56:57], v[2:3]
	v_fma_f64 v[56:57], s[28:29], v[134:135], v[124:125]
	v_add_f64 v[138:139], v[30:31], v[34:35]
	v_mul_f64 v[132:133], v[176:177], s[38:39]
	v_add_f64 v[0:1], v[56:57], v[0:1]
	v_fma_f64 v[56:57], v[138:139], s[28:29], -v[132:133]
	v_mul_f64 v[140:141], v[110:111], s[20:21]
	v_add_f64 v[2:3], v[56:57], v[2:3]
	v_fma_f64 v[56:57], s[8:9], v[86:87], v[140:141]
	v_mul_f64 v[142:143], v[128:129], s[34:35]
	v_add_f64 v[56:57], v[4:5], v[56:57]
	v_fma_f64 v[58:59], s[18:19], v[92:93], v[142:143]
	v_mul_f64 v[158:159], v[104:105], s[20:21]
	v_add_f64 v[56:57], v[58:59], v[56:57]
	v_fma_f64 v[58:59], v[88:89], s[8:9], -v[158:159]
	v_mul_f64 v[160:161], v[114:115], s[34:35]
	v_add_f64 v[58:59], v[6:7], v[58:59]
	v_fma_f64 v[60:61], v[94:95], s[18:19], -v[160:161]
	v_mul_f64 v[152:153], v[136:137], s[38:39]
	v_add_f64 v[58:59], v[60:61], v[58:59]
	v_fma_f64 v[60:61], s[28:29], v[100:101], v[152:153]
	v_mul_f64 v[164:165], v[122:123], s[38:39]
	v_add_f64 v[56:57], v[60:61], v[56:57]
	v_fma_f64 v[60:61], v[102:103], s[28:29], -v[164:165]
	v_mul_f64 v[156:157], v[154:155], s[30:31]
	v_add_f64 v[58:59], v[60:61], v[58:59]
	v_fma_f64 v[60:61], s[22:23], v[112:113], v[156:157]
	v_mul_f64 v[172:173], v[150:151], s[30:31]
	s_mov_b32 s43, 0x3fefc445
	s_mov_b32 s42, s26
	v_add_f64 v[56:57], v[60:61], v[56:57]
	v_fma_f64 v[60:61], v[118:119], s[22:23], -v[172:173]
	v_mul_f64 v[162:163], v[170:171], s[42:43]
	v_add_f64 v[58:59], v[60:61], v[58:59]
	v_fma_f64 v[60:61], s[10:11], v[126:127], v[162:163]
	v_mul_f64 v[174:175], v[166:167], s[42:43]
	s_mov_b32 s41, 0x3fddbe06
	s_mov_b32 s40, s24
	v_add_f64 v[56:57], v[60:61], v[56:57]
	v_fma_f64 v[60:61], v[130:131], s[10:11], -v[174:175]
	v_mul_f64 v[168:169], v[178:179], s[40:41]
	v_add_f64 v[58:59], v[60:61], v[58:59]
	v_fma_f64 v[60:61], s[0:1], v[134:135], v[168:169]
	v_mul_f64 v[180:181], v[176:177], s[40:41]
	v_add_f64 v[68:69], v[60:61], v[56:57]
	v_fma_f64 v[56:57], v[138:139], s[0:1], -v[180:181]
	v_add_f64 v[70:71], v[56:57], v[58:59]
	s_waitcnt lgkmcnt(0)
	; wave barrier
	s_and_saveexec_b64 s[16:17], s[4:5]
	s_cbranch_execz .LBB0_7
; %bb.6:
	v_mul_f64 v[60:61], v[88:89], s[28:29]
	s_mov_b32 s47, 0x3fcea1e5
	s_mov_b32 s46, s38
	v_fma_f64 v[56:57], s[46:47], v[104:105], v[60:61]
	v_mul_f64 v[62:63], v[94:95], s[0:1]
	v_add_f64 v[56:57], v[6:7], v[56:57]
	v_fma_f64 v[58:59], s[24:25], v[114:115], v[62:63]
	v_mul_f64 v[64:65], v[102:103], s[22:23]
	v_add_f64 v[56:57], v[58:59], v[56:57]
	;; [unrolled: 3-line block ×3, first 2 shown]
	v_fma_f64 v[58:59], s[20:21], v[150:151], v[66:67]
	s_mov_b32 s45, 0x3fedeba7
	s_mov_b32 s44, s34
	v_mul_f64 v[72:73], v[130:131], s[18:19]
	v_add_f64 v[56:57], v[58:59], v[56:57]
	v_fma_f64 v[58:59], s[44:45], v[166:167], v[72:73]
	v_mul_f64 v[74:75], v[110:111], s[38:39]
	v_add_f64 v[56:57], v[58:59], v[56:57]
	v_fma_f64 v[58:59], s[28:29], v[86:87], v[74:75]
	;; [unrolled: 3-line block ×3, first 2 shown]
	v_fmac_f64_e32 v[60:61], s[38:39], v[104:105]
	v_add_f64 v[58:59], v[78:79], v[58:59]
	v_mul_f64 v[78:79], v[136:137], s[36:37]
	v_fmac_f64_e32 v[62:63], s[40:41], v[114:115]
	v_add_f64 v[60:61], v[6:7], v[60:61]
	v_fma_f64 v[182:183], s[22:23], v[100:101], v[78:79]
	s_mov_b32 s49, 0x3fea55e2
	s_mov_b32 s48, s20
	v_add_f64 v[60:61], v[62:63], v[60:61]
	v_fmac_f64_e32 v[64:65], s[36:37], v[122:123]
	v_add_f64 v[58:59], v[182:183], v[58:59]
	v_mul_f64 v[182:183], v[154:155], s[48:49]
	v_add_f64 v[60:61], v[64:65], v[60:61]
	v_fma_f64 v[64:65], v[86:87], s[28:29], -v[74:75]
	v_fma_f64 v[184:185], s[8:9], v[112:113], v[182:183]
	v_fma_f64 v[62:63], v[92:93], s[0:1], -v[76:77]
	v_add_f64 v[64:65], v[4:5], v[64:65]
	v_add_f64 v[58:59], v[184:185], v[58:59]
	v_mul_f64 v[184:185], v[170:171], s[34:35]
	v_fmac_f64_e32 v[66:67], s[48:49], v[150:151]
	v_add_f64 v[62:63], v[62:63], v[64:65]
	v_fma_f64 v[64:65], v[100:101], s[22:23], -v[78:79]
	v_fma_f64 v[186:187], s[18:19], v[126:127], v[184:185]
	v_mul_f64 v[188:189], v[138:139], s[10:11]
	v_add_f64 v[60:61], v[66:67], v[60:61]
	v_fmac_f64_e32 v[72:73], s[34:35], v[166:167]
	v_add_f64 v[62:63], v[64:65], v[62:63]
	v_fma_f64 v[64:65], v[112:113], s[8:9], -v[182:183]
	v_add_f64 v[186:187], v[186:187], v[58:59]
	v_fma_f64 v[58:59], s[26:27], v[176:177], v[188:189]
	v_mul_f64 v[190:191], v[178:179], s[42:43]
	v_add_f64 v[60:61], v[72:73], v[60:61]
	v_add_f64 v[62:63], v[64:65], v[62:63]
	v_fma_f64 v[64:65], v[126:127], s[18:19], -v[184:185]
	v_fmac_f64_e32 v[188:189], s[42:43], v[176:177]
	v_add_f64 v[64:65], v[64:65], v[62:63]
	v_add_f64 v[62:63], v[188:189], v[60:61]
	v_fma_f64 v[60:61], v[134:135], s[10:11], -v[190:191]
	v_mul_f64 v[72:73], v[88:89], s[22:23]
	v_add_f64 v[60:61], v[60:61], v[64:65]
	v_fma_f64 v[64:65], s[30:31], v[104:105], v[72:73]
	v_mul_f64 v[74:75], v[94:95], s[10:11]
	v_add_f64 v[64:65], v[6:7], v[64:65]
	v_fma_f64 v[66:67], s[26:27], v[114:115], v[74:75]
	;; [unrolled: 3-line block ×5, first 2 shown]
	v_add_f64 v[64:65], v[66:67], v[64:65]
	v_fma_f64 v[66:67], s[24:25], v[166:167], v[182:183]
	v_mul_f64 v[184:185], v[110:111], s[36:37]
	v_add_f64 v[56:57], v[56:57], v[186:187]
	v_add_f64 v[64:65], v[66:67], v[64:65]
	v_fma_f64 v[66:67], s[22:23], v[86:87], v[184:185]
	v_mul_f64 v[186:187], v[128:129], s[42:43]
	v_add_f64 v[66:67], v[4:5], v[66:67]
	v_fma_f64 v[188:189], s[10:11], v[92:93], v[186:187]
	v_fmac_f64_e32 v[72:73], s[36:37], v[104:105]
	v_add_f64 v[66:67], v[188:189], v[66:67]
	v_mul_f64 v[188:189], v[136:137], s[20:21]
	v_fmac_f64_e32 v[74:75], s[42:43], v[114:115]
	v_add_f64 v[72:73], v[6:7], v[72:73]
	v_fma_f64 v[190:191], s[8:9], v[100:101], v[188:189]
	v_add_f64 v[72:73], v[74:75], v[72:73]
	v_fmac_f64_e32 v[76:77], s[20:21], v[122:123]
	v_add_f64 v[66:67], v[190:191], v[66:67]
	v_mul_f64 v[190:191], v[154:155], s[46:47]
	v_add_f64 v[72:73], v[76:77], v[72:73]
	v_fma_f64 v[76:77], v[86:87], s[22:23], -v[184:185]
	v_fma_f64 v[192:193], s[28:29], v[112:113], v[190:191]
	v_fma_f64 v[74:75], v[92:93], s[10:11], -v[186:187]
	v_add_f64 v[76:77], v[4:5], v[76:77]
	v_add_f64 v[66:67], v[192:193], v[66:67]
	v_mul_f64 v[192:193], v[170:171], s[40:41]
	v_fmac_f64_e32 v[78:79], s[46:47], v[150:151]
	v_add_f64 v[74:75], v[74:75], v[76:77]
	v_fma_f64 v[76:77], v[100:101], s[8:9], -v[188:189]
	v_fma_f64 v[194:195], s[0:1], v[126:127], v[192:193]
	v_mul_f64 v[196:197], v[138:139], s[18:19]
	v_add_f64 v[72:73], v[78:79], v[72:73]
	v_fmac_f64_e32 v[182:183], s[40:41], v[166:167]
	v_add_f64 v[74:75], v[76:77], v[74:75]
	v_fma_f64 v[76:77], v[112:113], s[28:29], -v[190:191]
	v_add_f64 v[194:195], v[194:195], v[66:67]
	v_fma_f64 v[66:67], s[44:45], v[176:177], v[196:197]
	v_mul_f64 v[198:199], v[178:179], s[34:35]
	v_add_f64 v[72:73], v[182:183], v[72:73]
	v_add_f64 v[74:75], v[76:77], v[74:75]
	v_fma_f64 v[76:77], v[126:127], s[0:1], -v[192:193]
	v_fmac_f64_e32 v[196:197], s[34:35], v[176:177]
	v_add_f64 v[76:77], v[76:77], v[74:75]
	v_add_f64 v[74:75], v[196:197], v[72:73]
	v_fma_f64 v[72:73], v[134:135], s[18:19], -v[198:199]
	v_mul_f64 v[182:183], v[88:89], s[18:19]
	v_add_f64 v[72:73], v[72:73], v[76:77]
	v_fma_f64 v[76:77], s[44:45], v[104:105], v[182:183]
	v_mul_f64 v[184:185], v[94:95], s[22:23]
	v_add_f64 v[76:77], v[6:7], v[76:77]
	v_fma_f64 v[78:79], s[36:37], v[114:115], v[184:185]
	;; [unrolled: 3-line block ×5, first 2 shown]
	v_add_f64 v[76:77], v[78:79], v[76:77]
	v_fma_f64 v[78:79], s[38:39], v[166:167], v[190:191]
	v_mul_f64 v[192:193], v[110:111], s[34:35]
	v_add_f64 v[64:65], v[64:65], v[194:195]
	v_add_f64 v[76:77], v[78:79], v[76:77]
	v_fma_f64 v[78:79], s[18:19], v[86:87], v[192:193]
	v_mul_f64 v[194:195], v[128:129], s[30:31]
	v_add_f64 v[78:79], v[4:5], v[78:79]
	v_fma_f64 v[196:197], s[22:23], v[92:93], v[194:195]
	v_fmac_f64_e32 v[182:183], s[34:35], v[104:105]
	v_add_f64 v[78:79], v[196:197], v[78:79]
	v_mul_f64 v[196:197], v[136:137], s[40:41]
	v_fmac_f64_e32 v[184:185], s[30:31], v[114:115]
	v_add_f64 v[182:183], v[6:7], v[182:183]
	v_fma_f64 v[198:199], s[0:1], v[100:101], v[196:197]
	v_add_f64 v[182:183], v[184:185], v[182:183]
	v_fmac_f64_e32 v[186:187], s[40:41], v[122:123]
	v_add_f64 v[78:79], v[198:199], v[78:79]
	v_mul_f64 v[198:199], v[154:155], s[26:27]
	v_add_f64 v[182:183], v[186:187], v[182:183]
	v_fma_f64 v[186:187], v[86:87], s[18:19], -v[192:193]
	v_fma_f64 v[200:201], s[10:11], v[112:113], v[198:199]
	v_fma_f64 v[184:185], v[92:93], s[22:23], -v[194:195]
	v_add_f64 v[186:187], v[4:5], v[186:187]
	v_add_f64 v[78:79], v[200:201], v[78:79]
	v_mul_f64 v[200:201], v[170:171], s[46:47]
	v_fmac_f64_e32 v[188:189], s[26:27], v[150:151]
	v_add_f64 v[184:185], v[184:185], v[186:187]
	v_fma_f64 v[186:187], v[100:101], s[0:1], -v[196:197]
	v_fma_f64 v[202:203], s[28:29], v[126:127], v[200:201]
	v_mul_f64 v[204:205], v[138:139], s[8:9]
	v_add_f64 v[182:183], v[188:189], v[182:183]
	v_fmac_f64_e32 v[190:191], s[46:47], v[166:167]
	v_add_f64 v[184:185], v[186:187], v[184:185]
	v_fma_f64 v[186:187], v[112:113], s[10:11], -v[198:199]
	v_add_f64 v[202:203], v[202:203], v[78:79]
	v_fma_f64 v[78:79], s[20:21], v[176:177], v[204:205]
	v_mul_f64 v[206:207], v[178:179], s[48:49]
	v_add_f64 v[182:183], v[190:191], v[182:183]
	v_add_f64 v[184:185], v[186:187], v[184:185]
	v_fma_f64 v[186:187], v[126:127], s[28:29], -v[200:201]
	v_fmac_f64_e32 v[204:205], s[48:49], v[176:177]
	v_add_f64 v[186:187], v[186:187], v[184:185]
	v_add_f64 v[184:185], v[204:205], v[182:183]
	v_fma_f64 v[182:183], v[134:135], s[8:9], -v[206:207]
	v_mul_f64 v[190:191], v[88:89], s[10:11]
	v_add_f64 v[182:183], v[182:183], v[186:187]
	v_fma_f64 v[186:187], s[42:43], v[104:105], v[190:191]
	v_mul_f64 v[192:193], v[94:95], s[28:29]
	v_add_f64 v[186:187], v[6:7], v[186:187]
	v_fma_f64 v[188:189], s[46:47], v[114:115], v[192:193]
	;; [unrolled: 3-line block ×5, first 2 shown]
	v_mul_f64 v[110:111], v[110:111], s[26:27]
	v_add_f64 v[186:187], v[188:189], v[186:187]
	v_mul_f64 v[128:129], v[128:129], s[38:39]
	v_fma_f64 v[188:189], s[10:11], v[86:87], v[110:111]
	v_fma_f64 v[110:111], v[86:87], s[10:11], -v[110:111]
	v_add_f64 v[188:189], v[4:5], v[188:189]
	v_fma_f64 v[200:201], s[28:29], v[92:93], v[128:129]
	v_mul_f64 v[136:137], v[136:137], s[44:45]
	v_fmac_f64_e32 v[192:193], s[38:39], v[114:115]
	v_fma_f64 v[114:115], v[92:93], s[28:29], -v[128:129]
	v_add_f64 v[110:111], v[4:5], v[110:111]
	v_add_f64 v[188:189], v[200:201], v[188:189]
	v_fma_f64 v[200:201], s[18:19], v[100:101], v[136:137]
	v_mul_f64 v[154:155], v[154:155], s[40:41]
	v_add_f64 v[110:111], v[114:115], v[110:111]
	v_fma_f64 v[114:115], v[100:101], s[18:19], -v[136:137]
	v_mul_f64 v[136:137], v[88:89], s[8:9]
	v_mul_f64 v[170:171], v[170:171], s[20:21]
	v_add_f64 v[110:111], v[114:115], v[110:111]
	v_fma_f64 v[114:115], v[112:113], s[0:1], -v[154:155]
	v_mul_f64 v[128:129], v[94:95], s[18:19]
	v_add_f64 v[136:137], v[158:159], v[136:137]
	v_fmac_f64_e32 v[194:195], s[44:45], v[122:123]
	v_add_f64 v[110:111], v[114:115], v[110:111]
	v_fma_f64 v[114:115], v[126:127], s[8:9], -v[170:171]
	v_mul_f64 v[122:123], v[102:103], s[28:29]
	v_add_f64 v[128:129], v[160:161], v[128:129]
	v_add_f64 v[136:137], v[6:7], v[136:137]
	;; [unrolled: 1-line block ×3, first 2 shown]
	v_mul_f64 v[114:115], v[118:119], s[22:23]
	v_add_f64 v[122:123], v[164:165], v[122:123]
	v_add_f64 v[128:129], v[128:129], v[136:137]
	;; [unrolled: 1-line block ×4, first 2 shown]
	v_fmac_f64_e32 v[190:191], s[26:27], v[104:105]
	v_add_f64 v[114:115], v[114:115], v[122:123]
	v_mul_f64 v[122:123], v[86:87], s[0:1]
	v_mul_f64 v[128:129], v[88:89], s[0:1]
	;; [unrolled: 1-line block ×3, first 2 shown]
	v_add_f64 v[104:105], v[6:7], v[190:191]
	v_add_f64 v[86:87], v[86:87], -v[140:141]
	v_add_f64 v[82:83], v[82:83], v[128:129]
	v_add_f64 v[80:81], v[122:123], -v[80:81]
	v_add_f64 v[104:105], v[192:193], v[104:105]
	v_add_f64 v[86:87], v[4:5], v[86:87]
	;; [unrolled: 1-line block ×7, first 2 shown]
	v_fma_f64 v[76:77], s[8:9], v[134:135], v[206:207]
	v_add_f64 v[188:189], v[200:201], v[188:189]
	v_fma_f64 v[200:201], s[0:1], v[112:113], v[154:155]
	v_fmac_f64_e32 v[196:197], s[40:41], v[150:151]
	v_add_f64 v[104:105], v[194:195], v[104:105]
	v_add_f64 v[6:7], v[6:7], v[14:15]
	;; [unrolled: 1-line block ×5, first 2 shown]
	v_fma_f64 v[200:201], s[8:9], v[126:127], v[170:171]
	v_mul_f64 v[202:203], v[138:139], s[22:23]
	v_mul_f64 v[204:205], v[178:179], s[36:37]
	v_fmac_f64_e32 v[198:199], s[20:21], v[166:167]
	v_add_f64 v[104:105], v[196:197], v[104:105]
	v_add_f64 v[6:7], v[6:7], v[18:19]
	;; [unrolled: 1-line block ×4, first 2 shown]
	v_fma_f64 v[188:189], s[30:31], v[176:177], v[202:203]
	v_fma_f64 v[178:179], s[22:23], v[134:135], v[204:205]
	v_fmac_f64_e32 v[202:203], s[36:37], v[176:177]
	v_add_f64 v[104:105], v[198:199], v[104:105]
	v_add_f64 v[6:7], v[6:7], v[22:23]
	;; [unrolled: 1-line block ×6, first 2 shown]
	v_fma_f64 v[104:105], v[134:135], s[22:23], -v[204:205]
	v_mul_f64 v[94:95], v[94:95], s[8:9]
	v_add_f64 v[6:7], v[6:7], v[26:27]
	v_add_f64 v[4:5], v[4:5], v[24:25]
	;; [unrolled: 1-line block ×3, first 2 shown]
	v_mul_f64 v[110:111], v[130:131], s[10:11]
	v_mul_f64 v[150:151], v[100:101], s[28:29]
	;; [unrolled: 1-line block ×3, first 2 shown]
	v_add_f64 v[90:91], v[90:91], v[94:95]
	v_add_f64 v[6:7], v[6:7], v[30:31]
	;; [unrolled: 1-line block ×3, first 2 shown]
	v_mul_f64 v[104:105], v[138:139], s[0:1]
	v_add_f64 v[110:111], v[174:175], v[110:111]
	v_add_f64 v[150:151], v[150:151], -v[152:153]
	v_mul_f64 v[152:153], v[92:93], s[8:9]
	v_mul_f64 v[92:93], v[92:93], s[18:19]
	;; [unrolled: 1-line block ×3, first 2 shown]
	v_add_f64 v[98:99], v[98:99], v[102:103]
	v_add_f64 v[82:83], v[90:91], v[82:83]
	;; [unrolled: 1-line block ×6, first 2 shown]
	v_mul_f64 v[100:101], v[100:101], s[10:11]
	v_mul_f64 v[130:131], v[130:131], s[22:23]
	v_add_f64 v[92:93], v[92:93], -v[142:143]
	v_add_f64 v[108:109], v[108:109], v[118:119]
	v_add_f64 v[82:83], v[98:99], v[82:83]
	v_add_f64 v[84:85], v[152:153], -v[84:85]
	v_add_f64 v[6:7], v[6:7], v[38:39]
	v_add_f64 v[4:5], v[4:5], v[36:37]
	v_mul_f64 v[136:137], v[112:113], s[22:23]
	v_mul_f64 v[112:113], v[112:113], s[18:19]
	;; [unrolled: 1-line block ×3, first 2 shown]
	v_add_f64 v[88:89], v[104:105], v[88:89]
	v_add_f64 v[86:87], v[92:93], v[86:87]
	;; [unrolled: 1-line block ×4, first 2 shown]
	v_add_f64 v[96:97], v[100:101], -v[96:97]
	v_add_f64 v[80:81], v[84:85], v[80:81]
	v_add_f64 v[6:7], v[6:7], v[42:43]
	;; [unrolled: 1-line block ×3, first 2 shown]
	v_mul_f64 v[114:115], v[126:127], s[10:11]
	v_add_f64 v[136:137], v[136:137], -v[156:157]
	v_mul_f64 v[126:127], v[126:127], s[22:23]
	v_add_f64 v[86:87], v[150:151], v[86:87]
	v_add_f64 v[92:93], v[132:133], v[138:139]
	;; [unrolled: 1-line block ×3, first 2 shown]
	v_add_f64 v[94:95], v[112:113], -v[106:107]
	v_add_f64 v[80:81], v[96:97], v[80:81]
	v_add_f64 v[6:7], v[6:7], v[46:47]
	v_add_f64 v[4:5], v[4:5], v[44:45]
	v_mul_f64 v[110:111], v[134:135], s[0:1]
	v_add_f64 v[114:115], v[114:115], -v[162:163]
	v_mul_f64 v[134:135], v[134:135], s[28:29]
	v_add_f64 v[86:87], v[136:137], v[86:87]
	v_add_f64 v[82:83], v[92:93], v[82:83]
	v_add_f64 v[92:93], v[126:127], -v[116:117]
	v_add_f64 v[80:81], v[94:95], v[80:81]
	v_add_f64 v[6:7], v[6:7], v[50:51]
	;; [unrolled: 1-line block ×3, first 2 shown]
	v_mul_lo_u16_e32 v8, 13, v144
	v_add_f64 v[110:111], v[110:111], -v[168:169]
	v_add_f64 v[86:87], v[114:115], v[86:87]
	v_add_f64 v[90:91], v[134:135], -v[124:125]
	v_add_f64 v[80:81], v[92:93], v[80:81]
	v_add_f64 v[6:7], v[6:7], v[54:55]
	v_add_f64 v[4:5], v[4:5], v[52:53]
	v_add_lshl_u32 v8, v147, v8, 4
	v_add_f64 v[86:87], v[110:111], v[86:87]
	v_add_f64 v[80:81], v[90:91], v[80:81]
	ds_write_b128 v8, v[4:7]
	ds_write_b128 v8, v[80:83] offset:16
	ds_write_b128 v8, v[86:89] offset:32
	;; [unrolled: 1-line block ×12, first 2 shown]
.LBB0_7:
	s_or_b64 exec, exec, s[16:17]
	s_load_dwordx4 s[8:11], s[2:3], 0x0
	v_lshl_add_u64 v[116:117], v[144:145], 0, -13
	v_cmp_gt_u16_e64 s[2:3], 13, v144
	s_waitcnt lgkmcnt(0)
	; wave barrier
	s_waitcnt lgkmcnt(0)
	v_cndmask_b32_e64 v72, v116, v144, s[2:3]
	v_mul_hi_i32_i24_e32 v5, 10, v72
	v_mul_i32_i24_e32 v4, 10, v72
	v_lshl_add_u64 v[44:45], v[4:5], 4, s[6:7]
	global_load_dwordx4 v[16:19], v[44:45], off
	global_load_dwordx4 v[12:15], v[44:45], off offset:16
	global_load_dwordx4 v[8:11], v[44:45], off offset:32
	;; [unrolled: 1-line block ×9, first 2 shown]
	v_add_lshl_u32 v247, v147, v144, 4
	ds_read_b128 v[74:77], v247
	ds_read_b128 v[44:47], v247 offset:416
	ds_read_b128 v[52:55], v247 offset:832
	;; [unrolled: 1-line block ×10, first 2 shown]
	s_mov_b32 s28, 0xf8bb580b
	s_mov_b32 s20, 0x43842ef
	;; [unrolled: 1-line block ×26, first 2 shown]
	v_mov_b32_e32 v73, 0x8f
	v_cmp_lt_u16_e32 vcc, 12, v144
	s_waitcnt lgkmcnt(0)
	; wave barrier
	s_waitcnt lgkmcnt(0)
	v_cndmask_b32_e32 v73, 0, v73, vcc
	v_add_u32_e32 v72, v72, v73
	v_add_lshl_u32 v248, v147, v72, 4
	s_waitcnt vmcnt(9)
	v_mul_f64 v[106:107], v[46:47], v[18:19]
	v_mul_f64 v[108:109], v[44:45], v[18:19]
	s_waitcnt vmcnt(8)
	v_mul_f64 v[110:111], v[54:55], v[14:15]
	v_mul_f64 v[112:113], v[52:53], v[14:15]
	;; [unrolled: 3-line block ×3, first 2 shown]
	v_fma_f64 v[44:45], v[44:45], v[16:17], -v[106:107]
	v_fmac_f64_e32 v[108:109], v[46:47], v[16:17]
	v_mul_f64 v[114:115], v[62:63], v[10:11]
	s_waitcnt vmcnt(0)
	v_mul_f64 v[132:133], v[104:105], v[38:39]
	v_mul_f64 v[64:65], v[60:61], v[10:11]
	;; [unrolled: 1-line block ×4, first 2 shown]
	v_fma_f64 v[106:107], v[52:53], v[12:13], -v[110:111]
	v_fmac_f64_e32 v[112:113], v[54:55], v[12:13]
	v_fma_f64 v[52:53], v[82:83], v[32:33], -v[120:121]
	v_fmac_f64_e32 v[48:49], v[84:85], v[32:33]
	v_fma_f64 v[46:47], v[102:103], v[36:37], -v[132:133]
	v_add_f64 v[82:83], v[74:75], v[44:45]
	v_add_f64 v[84:85], v[76:77], v[108:109]
	v_mul_f64 v[118:119], v[80:81], v[6:7]
	v_mul_f64 v[56:57], v[78:79], v[6:7]
	;; [unrolled: 1-line block ×4, first 2 shown]
	v_fma_f64 v[110:111], v[60:61], v[8:9], -v[114:115]
	v_fmac_f64_e32 v[64:65], v[62:63], v[8:9]
	v_fma_f64 v[54:55], v[86:87], v[28:29], -v[122:123]
	v_fma_f64 v[62:63], v[90:91], v[24:25], -v[124:125]
	v_add_f64 v[86:87], v[44:45], v[46:47]
	v_add_f64 v[90:91], v[44:45], -v[46:47]
	v_add_f64 v[44:45], v[82:83], v[106:107]
	v_add_f64 v[82:83], v[84:85], v[112:113]
	v_fma_f64 v[60:61], v[78:79], v[4:5], -v[118:119]
	v_fmac_f64_e32 v[56:57], v[80:81], v[4:5]
	v_add_f64 v[44:45], v[44:45], v[110:111]
	v_add_f64 v[82:83], v[82:83], v[64:65]
	;; [unrolled: 1-line block ×4, first 2 shown]
	v_fmac_f64_e32 v[50:51], v[88:89], v[28:29]
	v_add_f64 v[44:45], v[44:45], v[52:53]
	v_add_f64 v[82:83], v[82:83], v[48:49]
	v_mul_f64 v[126:127], v[96:97], v[22:23]
	v_mul_f64 v[66:67], v[94:95], v[22:23]
	v_fmac_f64_e32 v[58:59], v[92:93], v[24:25]
	v_add_f64 v[44:45], v[44:45], v[54:55]
	v_add_f64 v[82:83], v[82:83], v[50:51]
	v_mul_f64 v[128:129], v[100:101], v[42:43]
	v_mul_f64 v[130:131], v[98:99], v[42:43]
	;; [unrolled: 1-line block ×3, first 2 shown]
	v_fma_f64 v[78:79], v[94:95], v[20:21], -v[126:127]
	v_fmac_f64_e32 v[66:67], v[96:97], v[20:21]
	v_add_f64 v[44:45], v[44:45], v[62:63]
	v_add_f64 v[82:83], v[82:83], v[58:59]
	v_fma_f64 v[80:81], v[98:99], v[40:41], -v[128:129]
	v_fmac_f64_e32 v[130:131], v[100:101], v[40:41]
	v_fmac_f64_e32 v[134:135], v[104:105], v[36:37]
	v_add_f64 v[44:45], v[44:45], v[78:79]
	v_add_f64 v[82:83], v[82:83], v[66:67]
	v_add_f64 v[92:93], v[108:109], -v[134:135]
	v_add_f64 v[44:45], v[44:45], v[80:81]
	v_add_f64 v[82:83], v[82:83], v[130:131]
	v_add_f64 v[88:89], v[108:109], v[134:135]
	v_add_f64 v[44:45], v[44:45], v[46:47]
	v_add_f64 v[46:47], v[82:83], v[134:135]
	v_mul_f64 v[82:83], v[92:93], s[28:29]
	v_mul_f64 v[94:95], v[90:91], s[28:29]
	;; [unrolled: 1-line block ×10, first 2 shown]
	v_fma_f64 v[84:85], v[86:87], s[22:23], -v[82:83]
	v_fma_f64 v[96:97], s[22:23], v[88:89], v[94:95]
	v_fmac_f64_e32 v[82:83], s[22:23], v[86:87]
	v_fma_f64 v[94:95], v[88:89], s[22:23], -v[94:95]
	v_fma_f64 v[100:101], v[86:87], s[0:1], -v[98:99]
	v_fma_f64 v[104:105], s[0:1], v[88:89], v[102:103]
	v_fmac_f64_e32 v[98:99], s[0:1], v[86:87]
	v_fma_f64 v[102:103], v[88:89], s[0:1], -v[102:103]
	v_fma_f64 v[114:115], v[86:87], s[16:17], -v[108:109]
	v_fma_f64 v[120:121], s[16:17], v[88:89], v[118:119]
	v_fmac_f64_e32 v[108:109], s[16:17], v[86:87]
	v_fma_f64 v[118:119], v[88:89], s[16:17], -v[118:119]
	v_fma_f64 v[124:125], v[86:87], s[24:25], -v[122:123]
	v_fma_f64 v[128:129], s[24:25], v[88:89], v[126:127]
	v_fmac_f64_e32 v[122:123], s[24:25], v[86:87]
	v_fma_f64 v[126:127], v[88:89], s[24:25], -v[126:127]
	v_fma_f64 v[132:133], v[86:87], s[30:31], -v[92:93]
	v_fma_f64 v[134:135], s[30:31], v[88:89], v[90:91]
	v_fmac_f64_e32 v[92:93], s[30:31], v[86:87]
	v_fma_f64 v[86:87], v[88:89], s[30:31], -v[90:91]
	v_add_f64 v[90:91], v[112:113], -v[130:131]
	v_add_f64 v[84:85], v[74:75], v[84:85]
	v_add_f64 v[96:97], v[76:77], v[96:97]
	;; [unrolled: 1-line block ×21, first 2 shown]
	v_mul_f64 v[92:93], v[90:91], s[18:19]
	v_add_f64 v[80:81], v[106:107], -v[80:81]
	v_fma_f64 v[106:107], v[86:87], s[0:1], -v[92:93]
	v_add_f64 v[88:89], v[112:113], v[130:131]
	v_add_f64 v[84:85], v[106:107], v[84:85]
	v_mul_f64 v[106:107], v[80:81], s[18:19]
	v_fmac_f64_e32 v[92:93], s[0:1], v[86:87]
	v_add_f64 v[82:83], v[92:93], v[82:83]
	v_fma_f64 v[92:93], v[88:89], s[0:1], -v[106:107]
	v_add_f64 v[92:93], v[92:93], v[94:95]
	v_mul_f64 v[94:95], v[90:91], s[26:27]
	v_fma_f64 v[112:113], s[0:1], v[88:89], v[106:107]
	v_fma_f64 v[106:107], v[86:87], s[24:25], -v[94:95]
	v_add_f64 v[100:101], v[106:107], v[100:101]
	v_mul_f64 v[106:107], v[80:81], s[26:27]
	v_fmac_f64_e32 v[94:95], s[24:25], v[86:87]
	v_add_f64 v[94:95], v[94:95], v[98:99]
	v_fma_f64 v[98:99], v[88:89], s[24:25], -v[106:107]
	v_add_f64 v[96:97], v[112:113], v[96:97]
	v_fma_f64 v[112:113], s[24:25], v[88:89], v[106:107]
	v_add_f64 v[98:99], v[98:99], v[102:103]
	v_mul_f64 v[102:103], v[90:91], s[40:41]
	v_add_f64 v[104:105], v[112:113], v[104:105]
	v_fma_f64 v[106:107], v[86:87], s[30:31], -v[102:103]
	v_mul_f64 v[112:113], v[80:81], s[40:41]
	v_fmac_f64_e32 v[102:103], s[30:31], v[86:87]
	v_add_f64 v[106:107], v[106:107], v[114:115]
	v_fma_f64 v[114:115], s[30:31], v[88:89], v[112:113]
	v_add_f64 v[102:103], v[102:103], v[108:109]
	v_fma_f64 v[108:109], v[88:89], s[30:31], -v[112:113]
	v_mul_f64 v[112:113], v[90:91], s[38:39]
	v_add_f64 v[114:115], v[114:115], v[120:121]
	v_add_f64 v[108:109], v[108:109], v[118:119]
	v_fma_f64 v[118:119], v[86:87], s[16:17], -v[112:113]
	v_mul_f64 v[120:121], v[80:81], s[38:39]
	v_add_f64 v[118:119], v[118:119], v[124:125]
	v_fma_f64 v[124:125], s[16:17], v[88:89], v[120:121]
	v_fmac_f64_e32 v[112:113], s[16:17], v[86:87]
	v_fma_f64 v[120:121], v[88:89], s[16:17], -v[120:121]
	v_mul_f64 v[90:91], v[90:91], s[36:37]
	v_mul_f64 v[80:81], v[80:81], s[36:37]
	v_add_f64 v[112:113], v[112:113], v[122:123]
	v_add_f64 v[120:121], v[120:121], v[126:127]
	v_fma_f64 v[122:123], v[86:87], s[22:23], -v[90:91]
	v_fma_f64 v[126:127], s[22:23], v[88:89], v[80:81]
	v_fmac_f64_e32 v[90:91], s[22:23], v[86:87]
	v_fma_f64 v[80:81], v[88:89], s[22:23], -v[80:81]
	v_add_f64 v[86:87], v[64:65], v[66:67]
	v_add_f64 v[64:65], v[64:65], -v[66:67]
	v_add_f64 v[76:77], v[80:81], v[76:77]
	v_add_f64 v[80:81], v[110:111], v[78:79]
	v_mul_f64 v[66:67], v[64:65], s[20:21]
	v_add_f64 v[78:79], v[110:111], -v[78:79]
	v_fma_f64 v[88:89], v[80:81], s[16:17], -v[66:67]
	v_add_f64 v[84:85], v[88:89], v[84:85]
	v_mul_f64 v[88:89], v[78:79], s[20:21]
	v_fmac_f64_e32 v[66:67], s[16:17], v[80:81]
	v_add_f64 v[74:75], v[90:91], v[74:75]
	v_fma_f64 v[90:91], s[16:17], v[86:87], v[88:89]
	v_add_f64 v[66:67], v[66:67], v[82:83]
	v_fma_f64 v[82:83], v[86:87], s[16:17], -v[88:89]
	v_mul_f64 v[88:89], v[64:65], s[40:41]
	v_add_f64 v[90:91], v[90:91], v[96:97]
	v_add_f64 v[82:83], v[82:83], v[92:93]
	v_fma_f64 v[92:93], v[80:81], s[30:31], -v[88:89]
	v_mul_f64 v[96:97], v[78:79], s[40:41]
	v_fmac_f64_e32 v[88:89], s[30:31], v[80:81]
	s_mov_b32 s19, 0x3fed1bb4
	v_add_f64 v[92:93], v[92:93], v[100:101]
	v_fma_f64 v[100:101], s[30:31], v[86:87], v[96:97]
	v_add_f64 v[88:89], v[88:89], v[94:95]
	v_fma_f64 v[94:95], v[86:87], s[30:31], -v[96:97]
	v_mul_f64 v[96:97], v[64:65], s[18:19]
	v_add_f64 v[100:101], v[100:101], v[104:105]
	v_add_f64 v[94:95], v[94:95], v[98:99]
	v_fma_f64 v[98:99], v[80:81], s[0:1], -v[96:97]
	v_mul_f64 v[104:105], v[78:79], s[18:19]
	v_fmac_f64_e32 v[96:97], s[0:1], v[80:81]
	v_add_f64 v[98:99], v[98:99], v[106:107]
	v_fma_f64 v[106:107], s[0:1], v[86:87], v[104:105]
	v_add_f64 v[96:97], v[96:97], v[102:103]
	v_fma_f64 v[102:103], v[86:87], s[0:1], -v[104:105]
	v_mul_f64 v[104:105], v[64:65], s[28:29]
	v_add_f64 v[102:103], v[102:103], v[108:109]
	v_fma_f64 v[108:109], v[80:81], s[22:23], -v[104:105]
	v_fmac_f64_e32 v[104:105], s[22:23], v[80:81]
	v_mul_f64 v[64:65], v[64:65], s[26:27]
	v_mul_f64 v[110:111], v[78:79], s[28:29]
	v_add_f64 v[104:105], v[104:105], v[112:113]
	v_fma_f64 v[112:113], v[80:81], s[24:25], -v[64:65]
	v_mul_f64 v[78:79], v[78:79], s[26:27]
	v_fmac_f64_e32 v[64:65], s[24:25], v[80:81]
	v_add_f64 v[108:109], v[108:109], v[118:119]
	v_fma_f64 v[118:119], s[24:25], v[86:87], v[78:79]
	v_add_f64 v[64:65], v[64:65], v[74:75]
	v_fma_f64 v[74:75], v[86:87], s[24:25], -v[78:79]
	v_add_f64 v[78:79], v[56:57], v[58:59]
	v_add_f64 v[56:57], v[56:57], -v[58:59]
	v_add_f64 v[74:75], v[74:75], v[76:77]
	v_add_f64 v[76:77], v[60:61], v[62:63]
	v_add_f64 v[60:61], v[60:61], -v[62:63]
	v_mul_f64 v[58:59], v[56:57], s[26:27]
	v_fma_f64 v[62:63], v[76:77], s[24:25], -v[58:59]
	v_mul_f64 v[80:81], v[60:61], s[26:27]
	v_fmac_f64_e32 v[58:59], s[24:25], v[76:77]
	v_add_f64 v[62:63], v[62:63], v[84:85]
	v_fma_f64 v[84:85], s[24:25], v[78:79], v[80:81]
	v_add_f64 v[58:59], v[58:59], v[66:67]
	v_fma_f64 v[66:67], v[78:79], s[24:25], -v[80:81]
	v_mul_f64 v[80:81], v[56:57], s[38:39]
	v_add_f64 v[106:107], v[106:107], v[114:115]
	v_fma_f64 v[114:115], s[22:23], v[86:87], v[110:111]
	v_fma_f64 v[110:111], v[86:87], s[22:23], -v[110:111]
	v_add_f64 v[66:67], v[66:67], v[82:83]
	v_fma_f64 v[82:83], v[76:77], s[16:17], -v[80:81]
	v_mul_f64 v[86:87], v[60:61], s[38:39]
	v_fmac_f64_e32 v[80:81], s[16:17], v[76:77]
	v_add_f64 v[84:85], v[84:85], v[90:91]
	v_fma_f64 v[90:91], s[16:17], v[78:79], v[86:87]
	v_add_f64 v[80:81], v[80:81], v[88:89]
	v_fma_f64 v[86:87], v[78:79], s[16:17], -v[86:87]
	v_mul_f64 v[88:89], v[56:57], s[28:29]
	v_add_f64 v[82:83], v[82:83], v[92:93]
	v_add_f64 v[86:87], v[86:87], v[94:95]
	v_fma_f64 v[92:93], v[76:77], s[22:23], -v[88:89]
	v_mul_f64 v[94:95], v[60:61], s[28:29]
	v_fmac_f64_e32 v[88:89], s[22:23], v[76:77]
	v_add_f64 v[126:127], v[126:127], v[134:135]
	v_add_f64 v[92:93], v[92:93], v[98:99]
	v_fma_f64 v[98:99], s[22:23], v[78:79], v[94:95]
	v_add_f64 v[88:89], v[88:89], v[96:97]
	v_fma_f64 v[94:95], v[78:79], s[22:23], -v[94:95]
	v_mul_f64 v[96:97], v[56:57], s[34:35]
	v_add_f64 v[124:125], v[124:125], v[128:129]
	v_add_f64 v[118:119], v[118:119], v[126:127]
	;; [unrolled: 1-line block ×4, first 2 shown]
	v_fma_f64 v[100:101], v[76:77], s[30:31], -v[96:97]
	v_mul_f64 v[102:103], v[60:61], s[34:35]
	v_fmac_f64_e32 v[96:97], s[30:31], v[76:77]
	v_mul_f64 v[56:57], v[56:57], s[18:19]
	v_add_f64 v[126:127], v[48:49], -v[50:51]
	v_add_f64 v[122:123], v[122:123], v[132:133]
	v_add_f64 v[114:115], v[114:115], v[124:125]
	v_add_f64 v[110:111], v[110:111], v[120:121]
	v_add_f64 v[98:99], v[98:99], v[106:107]
	v_fma_f64 v[106:107], s[30:31], v[78:79], v[102:103]
	v_add_f64 v[96:97], v[96:97], v[104:105]
	v_fma_f64 v[102:103], v[78:79], s[30:31], -v[102:103]
	v_fma_f64 v[104:105], v[76:77], s[0:1], -v[56:57]
	v_mul_f64 v[60:61], v[60:61], s[18:19]
	v_fmac_f64_e32 v[56:57], s[0:1], v[76:77]
	v_add_f64 v[120:121], v[52:53], v[54:55]
	v_add_f64 v[124:125], v[52:53], -v[54:55]
	v_mul_f64 v[52:53], v[126:127], s[34:35]
	v_add_f64 v[112:113], v[112:113], v[122:123]
	v_add_f64 v[100:101], v[100:101], v[108:109]
	;; [unrolled: 1-line block ×3, first 2 shown]
	v_fma_f64 v[108:109], s[0:1], v[78:79], v[60:61]
	v_add_f64 v[110:111], v[56:57], v[64:65]
	v_fma_f64 v[56:57], v[78:79], s[0:1], -v[60:61]
	v_add_f64 v[122:123], v[48:49], v[50:51]
	v_fma_f64 v[48:49], v[120:121], s[30:31], -v[52:53]
	v_mul_f64 v[54:55], v[124:125], s[34:35]
	v_fmac_f64_e32 v[52:53], s[30:31], v[120:121]
	v_add_f64 v[104:105], v[104:105], v[112:113]
	v_add_f64 v[108:109], v[108:109], v[118:119]
	;; [unrolled: 1-line block ×4, first 2 shown]
	v_fma_f64 v[52:53], v[122:123], s[30:31], -v[54:55]
	v_mul_f64 v[56:57], v[126:127], s[36:37]
	v_mul_f64 v[58:59], v[124:125], s[36:37]
	;; [unrolled: 1-line block ×3, first 2 shown]
	v_add_f64 v[106:107], v[106:107], v[114:115]
	v_fma_f64 v[50:51], s[30:31], v[122:123], v[54:55]
	v_add_f64 v[114:115], v[52:53], v[66:67]
	v_fma_f64 v[52:53], v[120:121], s[22:23], -v[56:57]
	v_fma_f64 v[54:55], s[22:23], v[122:123], v[58:59]
	v_fmac_f64_e32 v[56:57], s[22:23], v[120:121]
	v_fma_f64 v[58:59], v[122:123], s[22:23], -v[58:59]
	v_fma_f64 v[60:61], v[120:121], s[24:25], -v[64:65]
	v_fmac_f64_e32 v[64:65], s[24:25], v[120:121]
	v_add_f64 v[56:57], v[56:57], v[80:81]
	v_add_f64 v[58:59], v[58:59], v[86:87]
	;; [unrolled: 1-line block ×3, first 2 shown]
	v_mul_f64 v[78:79], v[126:127], s[18:19]
	v_mul_f64 v[80:81], v[124:125], s[18:19]
	;; [unrolled: 1-line block ×4, first 2 shown]
	v_add_f64 v[50:51], v[50:51], v[84:85]
	v_add_f64 v[52:53], v[52:53], v[82:83]
	v_mul_f64 v[66:67], v[124:125], s[26:27]
	v_fma_f64 v[74:75], v[120:121], s[0:1], -v[78:79]
	v_fma_f64 v[76:77], s[0:1], v[122:123], v[80:81]
	v_fmac_f64_e32 v[78:79], s[0:1], v[120:121]
	v_fma_f64 v[80:81], v[122:123], s[0:1], -v[80:81]
	v_fma_f64 v[82:83], v[120:121], s[16:17], -v[86:87]
	v_fma_f64 v[84:85], s[16:17], v[122:123], v[88:89]
	v_fmac_f64_e32 v[86:87], s[16:17], v[120:121]
	v_fma_f64 v[88:89], v[122:123], s[16:17], -v[88:89]
	v_add_f64 v[48:49], v[48:49], v[62:63]
	v_fma_f64 v[62:63], s[24:25], v[122:123], v[66:67]
	v_fma_f64 v[66:67], v[122:123], s[24:25], -v[66:67]
	v_add_f64 v[74:75], v[74:75], v[100:101]
	v_add_f64 v[76:77], v[76:77], v[106:107]
	;; [unrolled: 1-line block ×12, first 2 shown]
	ds_write_b128 v248, v[44:47]
	ds_write_b128 v248, v[48:51] offset:208
	ds_write_b128 v248, v[52:55] offset:416
	;; [unrolled: 1-line block ×10, first 2 shown]
	s_waitcnt lgkmcnt(0)
	; wave barrier
	s_waitcnt lgkmcnt(0)
	ds_read_b128 v[72:75], v247
	ds_read_b128 v[84:87], v247 offset:416
	ds_read_b128 v[76:79], v247 offset:2704
	;; [unrolled: 1-line block ×9, first 2 shown]
	s_and_saveexec_b64 s[0:1], s[2:3]
	s_cbranch_execz .LBB0_9
; %bb.8:
	ds_read_b128 v[112:115], v247 offset:2080
	ds_read_b128 v[68:71], v247 offset:4368
	s_mov_b64 s[16:17], 0x82
	v_lshl_add_u64 v[116:117], v[144:145], 0, s[16:17]
.LBB0_9:
	s_or_b64 exec, exec, s[0:1]
	v_lshl_add_u64 v[44:45], v[116:117], 4, s[6:7]
	global_load_dwordx4 v[48:51], v148, s[6:7] offset:2080
	global_load_dwordx4 v[52:55], v148, s[6:7] offset:2496
	;; [unrolled: 1-line block ×5, first 2 shown]
	v_lshl_add_u32 v145, v144, 4, v246
	global_load_dwordx4 v[44:47], v[44:45], off offset:2080
	v_add_u32_e32 v249, v148, v246
	s_waitcnt vmcnt(5) lgkmcnt(3)
	v_mul_f64 v[116:117], v[106:107], v[50:51]
	v_mul_f64 v[118:119], v[104:105], v[50:51]
	s_waitcnt vmcnt(4)
	v_mul_f64 v[120:121], v[78:79], v[54:55]
	s_waitcnt vmcnt(3)
	v_mul_f64 v[124:125], v[82:83], v[58:59]
	v_mul_f64 v[122:123], v[76:77], v[54:55]
	v_mul_f64 v[126:127], v[80:81], v[58:59]
	s_waitcnt vmcnt(2) lgkmcnt(1)
	v_mul_f64 v[128:129], v[98:99], v[62:63]
	v_mul_f64 v[130:131], v[96:97], v[62:63]
	s_waitcnt vmcnt(1) lgkmcnt(0)
	v_mul_f64 v[132:133], v[90:91], v[66:67]
	v_mul_f64 v[134:135], v[88:89], v[66:67]
	v_fma_f64 v[104:105], v[104:105], v[48:49], -v[116:117]
	v_fmac_f64_e32 v[118:119], v[106:107], v[48:49]
	v_fma_f64 v[106:107], v[76:77], v[52:53], -v[120:121]
	v_fma_f64 v[116:117], v[80:81], v[56:57], -v[124:125]
	s_waitcnt vmcnt(0)
	v_mul_f64 v[76:77], v[70:71], v[46:47]
	v_mul_f64 v[124:125], v[68:69], v[46:47]
	v_fmac_f64_e32 v[122:123], v[78:79], v[52:53]
	v_fmac_f64_e32 v[126:127], v[82:83], v[56:57]
	v_fma_f64 v[96:97], v[96:97], v[60:61], -v[128:129]
	v_fmac_f64_e32 v[130:131], v[98:99], v[60:61]
	v_fma_f64 v[120:121], v[88:89], v[64:65], -v[132:133]
	;; [unrolled: 2-line block ×3, first 2 shown]
	v_fmac_f64_e32 v[124:125], v[70:71], v[44:45]
	v_add_f64 v[76:77], v[72:73], -v[104:105]
	v_add_f64 v[78:79], v[74:75], -v[118:119]
	;; [unrolled: 1-line block ×12, first 2 shown]
	v_fma_f64 v[72:73], v[72:73], 2.0, -v[76:77]
	v_fma_f64 v[74:75], v[74:75], 2.0, -v[78:79]
	v_fma_f64 v[84:85], v[84:85], 2.0, -v[80:81]
	v_fma_f64 v[86:87], v[86:87], 2.0, -v[82:83]
	v_fma_f64 v[92:93], v[92:93], 2.0, -v[88:89]
	v_fma_f64 v[94:95], v[94:95], 2.0, -v[90:91]
	v_fma_f64 v[100:101], v[100:101], 2.0, -v[96:97]
	v_fma_f64 v[102:103], v[102:103], 2.0, -v[98:99]
	v_fma_f64 v[108:109], v[108:109], 2.0, -v[104:105]
	v_fma_f64 v[110:111], v[110:111], 2.0, -v[106:107]
	v_fma_f64 v[112:113], v[112:113], 2.0, -v[116:117]
	v_fma_f64 v[114:115], v[114:115], 2.0, -v[118:119]
	ds_write_b128 v145, v[76:79] offset:2288
	ds_write_b128 v145, v[80:83] offset:2704
	;; [unrolled: 1-line block ×4, first 2 shown]
	ds_write_b128 v145, v[72:75]
	ds_write_b128 v145, v[84:87] offset:416
	ds_write_b128 v145, v[92:95] offset:832
	;; [unrolled: 1-line block ×5, first 2 shown]
	s_and_saveexec_b64 s[0:1], s[2:3]
	s_cbranch_execz .LBB0_11
; %bb.10:
	ds_write_b128 v145, v[112:115] offset:2080
	ds_write_b128 v145, v[116:119] offset:4368
.LBB0_11:
	s_or_b64 exec, exec, s[0:1]
	s_waitcnt lgkmcnt(0)
	; wave barrier
	s_waitcnt lgkmcnt(0)
	s_and_saveexec_b64 s[0:1], s[4:5]
	s_cbranch_execz .LBB0_13
; %bb.12:
	v_mov_b32_e32 v149, 0
	v_lshl_add_u64 v[136:137], s[12:13], 0, v[148:149]
	s_mov_b64 s[6:7], 0x11e0
	v_lshl_add_u64 v[138:139], v[136:137], 0, s[6:7]
	global_load_dwordx4 v[68:71], v[138:139], off offset:352
	global_load_dwordx4 v[120:123], v[138:139], off offset:704
	;; [unrolled: 1-line block ×9, first 2 shown]
	v_add_co_u32_e32 v162, vcc, 0x1000, v136
	s_movk_i32 s6, 0x2000
	s_nop 0
	v_addc_co_u32_e32 v163, vcc, 0, v137, vcc
	global_load_dwordx4 v[162:165], v[162:163], off offset:480
	s_nop 0
	global_load_dwordx4 v[166:169], v[138:139], off offset:3520
	global_load_dwordx4 v[170:173], v[138:139], off offset:3872
	v_add_co_u32_e32 v136, vcc, s6, v136
	s_nop 1
	v_addc_co_u32_e32 v137, vcc, 0, v137, vcc
	global_load_dwordx4 v[136:139], v[136:137], off offset:608
	ds_read_b128 v[174:177], v145
	ds_read_b128 v[178:181], v145 offset:352
	ds_read_b128 v[182:185], v145 offset:704
	;; [unrolled: 1-line block ×9, first 2 shown]
	s_waitcnt vmcnt(12) lgkmcnt(8)
	v_mul_f64 v[214:215], v[180:181], v[70:71]
	v_mul_f64 v[216:217], v[178:179], v[70:71]
	s_waitcnt vmcnt(11) lgkmcnt(7)
	v_mul_f64 v[218:219], v[184:185], v[122:123]
	v_mul_f64 v[70:71], v[182:183], v[122:123]
	;; [unrolled: 3-line block ×8, first 2 shown]
	v_fma_f64 v[214:215], v[178:179], v[68:69], -v[214:215]
	v_fmac_f64_e32 v[216:217], v[180:181], v[68:69]
	v_fma_f64 v[68:69], v[182:183], v[120:121], -v[218:219]
	v_fmac_f64_e32 v[70:71], v[184:185], v[120:121]
	;; [unrolled: 2-line block ×8, first 2 shown]
	ds_write_b128 v145, v[214:217] offset:352
	ds_write_b128 v145, v[68:71] offset:704
	;; [unrolled: 1-line block ×8, first 2 shown]
	ds_read_b128 v[68:71], v145 offset:3520
	ds_read_b128 v[120:123], v145 offset:3872
	s_waitcnt vmcnt(4) lgkmcnt(10)
	v_mul_f64 v[234:235], v[212:213], v[160:161]
	v_mul_f64 v[156:157], v[210:211], v[160:161]
	s_waitcnt vmcnt(3)
	v_mul_f64 v[160:161], v[176:177], v[164:165]
	s_waitcnt vmcnt(2) lgkmcnt(1)
	v_mul_f64 v[124:125], v[70:71], v[168:169]
	v_mul_f64 v[126:127], v[68:69], v[168:169]
	v_fma_f64 v[124:125], v[68:69], v[166:167], -v[124:125]
	v_fmac_f64_e32 v[126:127], v[70:71], v[166:167]
	ds_read_b128 v[68:71], v145 offset:4224
	ds_write_b128 v145, v[124:127] offset:3520
	s_waitcnt vmcnt(1) lgkmcnt(2)
	v_mul_f64 v[124:125], v[122:123], v[172:173]
	v_mul_f64 v[126:127], v[120:121], v[172:173]
	;; [unrolled: 1-line block ×3, first 2 shown]
	v_fma_f64 v[124:125], v[120:121], v[170:171], -v[124:125]
	v_fmac_f64_e32 v[126:127], v[122:123], v[170:171]
	s_waitcnt vmcnt(0) lgkmcnt(1)
	v_mul_f64 v[120:121], v[70:71], v[138:139]
	v_mul_f64 v[122:123], v[68:69], v[138:139]
	v_fma_f64 v[154:155], v[210:211], v[158:159], -v[234:235]
	v_fma_f64 v[218:219], v[174:175], v[162:163], -v[160:161]
	v_fmac_f64_e32 v[220:221], v[176:177], v[162:163]
	v_fmac_f64_e32 v[156:157], v[212:213], v[158:159]
	v_fma_f64 v[120:121], v[68:69], v[136:137], -v[120:121]
	v_fmac_f64_e32 v[122:123], v[70:71], v[136:137]
	ds_write_b128 v145, v[218:221]
	ds_write_b128 v145, v[154:157] offset:3168
	ds_write_b128 v145, v[124:127] offset:3872
	;; [unrolled: 1-line block ×3, first 2 shown]
.LBB0_13:
	s_or_b64 exec, exec, s[0:1]
	s_waitcnt lgkmcnt(0)
	; wave barrier
	s_waitcnt lgkmcnt(0)
	s_and_saveexec_b64 s[0:1], s[4:5]
	s_cbranch_execz .LBB0_15
; %bb.14:
	ds_read_b128 v[72:75], v145
	ds_read_b128 v[76:79], v145 offset:352
	ds_read_b128 v[84:87], v145 offset:704
	;; [unrolled: 1-line block ×12, first 2 shown]
.LBB0_15:
	s_or_b64 exec, exec, s[0:1]
	s_mov_b32 s18, 0x42a4c3d2
	s_waitcnt lgkmcnt(0)
	v_add_f64 v[156:157], v[78:79], -v[2:3]
	s_mov_b32 s0, 0x1ea71119
	s_mov_b32 s19, 0xbfea55e2
	s_mov_b32 s22, 0x2ef20147
	v_add_f64 v[150:151], v[76:77], v[0:1]
	v_add_f64 v[152:153], v[78:79], v[2:3]
	s_mov_b32 s1, 0x3fe22d96
	v_mul_f64 v[122:123], v[156:157], s[18:19]
	v_add_f64 v[164:165], v[86:87], -v[118:119]
	s_mov_b32 s16, 0xb2365da1
	s_mov_b32 s23, 0xbfedeba7
	v_add_f64 v[162:163], v[76:77], -v[0:1]
	v_mul_f64 v[124:125], v[152:153], s[0:1]
	v_fma_f64 v[68:69], v[150:151], s[0:1], -v[122:123]
	v_add_f64 v[154:155], v[84:85], v[116:117]
	v_add_f64 v[158:159], v[86:87], v[118:119]
	s_mov_b32 s17, 0xbfd6b1d8
	v_mul_f64 v[190:191], v[164:165], s[22:23]
	s_mov_b32 s28, 0x4bc48dbf
	v_add_f64 v[68:69], v[72:73], v[68:69]
	v_fma_f64 v[70:71], s[18:19], v[162:163], v[124:125]
	v_add_f64 v[170:171], v[84:85], -v[116:117]
	v_mul_f64 v[198:199], v[158:159], s[16:17]
	v_fma_f64 v[120:121], v[154:155], s[16:17], -v[190:191]
	v_add_f64 v[172:173], v[82:83], -v[114:115]
	s_mov_b32 s20, 0x93053d00
	s_mov_b32 s29, 0xbfcea1e5
	v_add_f64 v[70:71], v[74:75], v[70:71]
	v_add_f64 v[68:69], v[120:121], v[68:69]
	v_fma_f64 v[120:121], s[22:23], v[170:171], v[198:199]
	v_add_f64 v[160:161], v[80:81], v[112:113]
	v_add_f64 v[166:167], v[82:83], v[114:115]
	s_mov_b32 s21, 0xbfef11f4
	v_mul_f64 v[200:201], v[172:173], s[28:29]
	s_mov_b32 s40, 0x24c2f84
	v_add_f64 v[70:71], v[120:121], v[70:71]
	v_add_f64 v[180:181], v[80:81], -v[112:113]
	v_mul_f64 v[204:205], v[166:167], s[20:21]
	v_fma_f64 v[120:121], v[160:161], s[20:21], -v[200:201]
	v_add_f64 v[182:183], v[94:95], -v[106:107]
	s_mov_b32 s24, 0xd0032e0c
	s_mov_b32 s41, 0x3fe5384d
	v_add_f64 v[68:69], v[120:121], v[68:69]
	v_fma_f64 v[120:121], s[28:29], v[180:181], v[204:205]
	v_add_f64 v[168:169], v[92:93], v[104:105]
	v_add_f64 v[174:175], v[94:95], v[106:107]
	s_mov_b32 s25, 0xbfe7f3cc
	v_mul_f64 v[208:209], v[182:183], s[40:41]
	v_add_f64 v[70:71], v[120:121], v[70:71]
	v_add_f64 v[194:195], v[92:93], -v[104:105]
	v_mul_f64 v[210:211], v[174:175], s[24:25]
	v_fma_f64 v[120:121], v[168:169], s[24:25], -v[208:209]
	v_add_f64 v[196:197], v[90:91], -v[110:111]
	s_mov_b32 s26, 0xebaa3ed8
	s_mov_b32 s35, 0x3fefc445
	s_mov_b32 s34, 0x66966769
	v_add_f64 v[68:69], v[120:121], v[68:69]
	v_fma_f64 v[120:121], s[40:41], v[194:195], v[210:211]
	v_add_f64 v[176:177], v[88:89], v[108:109]
	v_add_f64 v[184:185], v[90:91], v[110:111]
	s_mov_b32 s27, 0x3fbedb7d
	v_mul_f64 v[214:215], v[196:197], s[34:35]
	v_add_f64 v[70:71], v[120:121], v[70:71]
	v_add_f64 v[206:207], v[88:89], -v[108:109]
	v_mul_f64 v[216:217], v[184:185], s[26:27]
	v_fma_f64 v[120:121], v[176:177], s[26:27], -v[214:215]
	v_add_f64 v[202:203], v[102:103], -v[98:99]
	s_mov_b32 s30, 0xe00740e9
	s_mov_b32 s37, 0x3fddbe06
	;; [unrolled: 1-line block ×3, first 2 shown]
	v_add_f64 v[68:69], v[120:121], v[68:69]
	v_fma_f64 v[120:121], s[34:35], v[206:207], v[216:217]
	v_add_f64 v[188:189], v[100:101], v[96:97]
	v_add_f64 v[192:193], v[102:103], v[98:99]
	s_mov_b32 s31, 0x3fec55a7
	v_mul_f64 v[218:219], v[202:203], s[36:37]
	v_add_f64 v[70:71], v[120:121], v[70:71]
	v_add_f64 v[212:213], v[100:101], -v[96:97]
	v_mul_f64 v[224:225], v[192:193], s[30:31]
	v_fma_f64 v[120:121], v[188:189], s[30:31], -v[218:219]
	v_add_f64 v[68:69], v[120:121], v[68:69]
	v_fma_f64 v[120:121], s[36:37], v[212:213], v[224:225]
	v_add_f64 v[70:71], v[120:121], v[70:71]
	s_waitcnt lgkmcnt(0)
	; wave barrier
	s_and_saveexec_b64 s[6:7], s[4:5]
	s_cbranch_execz .LBB0_17
; %bb.16:
	v_mul_f64 v[120:121], v[150:151], s[0:1]
	v_accvgpr_write_b32 a6, v120
	v_accvgpr_write_b32 a7, v121
	v_mul_f64 v[120:121], v[162:163], s[18:19]
	v_accvgpr_write_b32 a18, v120
	v_accvgpr_write_b32 a19, v121
	;; [unrolled: 3-line block ×9, first 2 shown]
	v_mul_f64 v[120:121], v[206:207], s[34:35]
	v_mul_f64 v[140:141], v[162:163], s[28:29]
	v_accvgpr_write_b32 a30, v120
	s_mov_b32 s39, 0xbfe5384d
	s_mov_b32 s38, s40
	v_mul_f64 v[136:137], v[170:171], s[36:37]
	v_fma_f64 v[142:143], s[20:21], v[152:153], v[140:141]
	v_mul_f64 v[254:255], v[156:157], s[28:29]
	v_accvgpr_write_b32 a31, v121
	v_mul_f64 v[120:121], v[188:189], s[30:31]
	s_mov_b32 s43, 0x3fea55e2
	s_mov_b32 s42, s18
	v_mul_f64 v[132:133], v[180:181], s[38:39]
	v_fma_f64 v[138:139], s[30:31], v[158:159], v[136:137]
	v_add_f64 v[142:143], v[74:75], v[142:143]
	v_mul_f64 v[252:253], v[164:165], s[36:37]
	v_fma_f64 v[228:229], v[150:151], s[20:21], -v[254:255]
	v_accvgpr_write_b32 a20, v120
	v_mul_f64 v[128:129], v[194:195], s[42:43]
	v_fma_f64 v[134:135], s[24:25], v[166:167], v[132:133]
	v_add_f64 v[138:139], v[138:139], v[142:143]
	v_mul_f64 v[222:223], v[172:173], s[38:39]
	v_accvgpr_write_b32 a0, v146
	v_mov_b32_e32 v149, v147
	v_fma_f64 v[146:147], v[154:155], s[30:31], -v[252:253]
	v_add_f64 v[228:229], v[72:73], v[228:229]
	v_accvgpr_write_b32 a21, v121
	v_mul_f64 v[120:121], v[212:213], s[36:37]
	v_accvgpr_write_b32 a28, v124
	v_mul_f64 v[126:127], v[206:207], s[22:23]
	v_accvgpr_write_b32 a16, v122
	v_fma_f64 v[130:131], s[0:1], v[174:175], v[128:129]
	v_add_f64 v[134:135], v[134:135], v[138:139]
	v_mul_f64 v[142:143], v[182:183], s[42:43]
	v_fma_f64 v[250:251], v[160:161], s[24:25], -v[222:223]
	v_add_f64 v[146:147], v[146:147], v[228:229]
	v_accvgpr_write_b32 a32, v120
	v_accvgpr_write_b32 a29, v125
	v_mul_f64 v[124:125], v[212:213], s[34:35]
	v_accvgpr_write_b32 a17, v123
	v_fma_f64 v[122:123], s[16:17], v[184:185], v[126:127]
	v_add_f64 v[130:131], v[130:131], v[134:135]
	v_mul_f64 v[134:135], v[196:197], s[22:23]
	v_fma_f64 v[220:221], v[168:169], s[0:1], -v[142:143]
	v_add_f64 v[146:147], v[250:251], v[146:147]
	v_accvgpr_write_b32 a33, v121
	v_fma_f64 v[120:121], s[26:27], v[192:193], v[124:125]
	v_add_f64 v[122:123], v[122:123], v[130:131]
	v_mul_f64 v[130:131], v[202:203], s[34:35]
	v_fma_f64 v[138:139], v[176:177], s[16:17], -v[134:135]
	v_add_f64 v[146:147], v[220:221], v[146:147]
	v_add_f64 v[122:123], v[120:121], v[122:123]
	v_fma_f64 v[120:121], v[188:189], s[26:27], -v[130:131]
	v_add_f64 v[138:139], v[138:139], v[146:147]
	v_add_f64 v[120:121], v[120:121], v[138:139]
	v_fma_f64 v[138:139], v[152:153], s[20:21], -v[140:141]
	v_fma_f64 v[136:137], v[158:159], s[30:31], -v[136:137]
	v_add_f64 v[138:139], v[74:75], v[138:139]
	v_fma_f64 v[132:133], v[166:167], s[24:25], -v[132:133]
	v_add_f64 v[136:137], v[136:137], v[138:139]
	;; [unrolled: 2-line block ×5, first 2 shown]
	v_fmac_f64_e32 v[254:255], s[20:21], v[150:151]
	v_add_f64 v[126:127], v[124:125], v[126:127]
	v_fmac_f64_e32 v[252:253], s[30:31], v[154:155]
	v_add_f64 v[124:125], v[72:73], v[254:255]
	;; [unrolled: 2-line block ×3, first 2 shown]
	v_add_f64 v[124:125], v[222:223], v[124:125]
	v_mul_f64 v[222:223], v[162:163], s[38:39]
	v_mul_f64 v[146:147], v[170:171], s[34:35]
	v_fma_f64 v[228:229], s[24:25], v[152:153], v[222:223]
	v_mul_f64 v[240:241], v[156:157], s[38:39]
	v_fmac_f64_e32 v[142:143], s[0:1], v[168:169]
	s_mov_b32 s45, 0x3fcea1e5
	s_mov_b32 s44, s28
	v_mul_f64 v[140:141], v[180:181], s[18:19]
	v_fma_f64 v[220:221], s[26:27], v[158:159], v[146:147]
	v_add_f64 v[228:229], v[74:75], v[228:229]
	v_mul_f64 v[236:237], v[164:165], s[34:35]
	v_fma_f64 v[234:235], v[150:151], s[24:25], -v[240:241]
	v_fmac_f64_e32 v[134:135], s[16:17], v[176:177]
	v_add_f64 v[124:125], v[142:143], v[124:125]
	v_mul_f64 v[136:137], v[194:195], s[44:45]
	v_fma_f64 v[142:143], s[0:1], v[166:167], v[140:141]
	v_add_f64 v[220:221], v[220:221], v[228:229]
	v_mul_f64 v[252:253], v[172:173], s[18:19]
	v_fma_f64 v[238:239], v[154:155], s[26:27], -v[236:237]
	v_add_f64 v[234:235], v[72:73], v[234:235]
	v_fmac_f64_e32 v[130:131], s[26:27], v[188:189]
	v_add_f64 v[124:125], v[134:135], v[124:125]
	v_mul_f64 v[134:135], v[206:207], s[36:37]
	v_fma_f64 v[138:139], s[20:21], v[174:175], v[136:137]
	v_add_f64 v[142:143], v[142:143], v[220:221]
	v_mul_f64 v[228:229], v[182:183], s[44:45]
	v_fma_f64 v[254:255], v[160:161], s[0:1], -v[252:253]
	v_add_f64 v[234:235], v[238:239], v[234:235]
	v_add_f64 v[124:125], v[130:131], v[124:125]
	v_mul_f64 v[132:133], v[212:213], s[22:23]
	v_fma_f64 v[130:131], s[30:31], v[184:185], v[134:135]
	v_add_f64 v[138:139], v[138:139], v[142:143]
	v_mul_f64 v[142:143], v[196:197], s[36:37]
	v_fma_f64 v[250:251], v[168:169], s[20:21], -v[228:229]
	v_add_f64 v[234:235], v[254:255], v[234:235]
	v_fma_f64 v[128:129], s[16:17], v[192:193], v[132:133]
	v_add_f64 v[130:131], v[130:131], v[138:139]
	v_mul_f64 v[138:139], v[202:203], s[22:23]
	v_fma_f64 v[220:221], v[176:177], s[30:31], -v[142:143]
	v_add_f64 v[234:235], v[250:251], v[234:235]
	v_add_f64 v[130:131], v[128:129], v[130:131]
	v_fma_f64 v[128:129], v[188:189], s[16:17], -v[138:139]
	v_add_f64 v[220:221], v[220:221], v[234:235]
	v_add_f64 v[128:129], v[128:129], v[220:221]
	v_fma_f64 v[220:221], v[152:153], s[24:25], -v[222:223]
	v_fma_f64 v[146:147], v[158:159], s[26:27], -v[146:147]
	v_add_f64 v[220:221], v[74:75], v[220:221]
	v_fma_f64 v[140:141], v[166:167], s[0:1], -v[140:141]
	v_add_f64 v[146:147], v[146:147], v[220:221]
	v_fma_f64 v[136:137], v[174:175], s[20:21], -v[136:137]
	v_add_f64 v[140:141], v[140:141], v[146:147]
	v_fma_f64 v[134:135], v[184:185], s[30:31], -v[134:135]
	v_add_f64 v[136:137], v[136:137], v[140:141]
	v_fma_f64 v[132:133], v[192:193], s[16:17], -v[132:133]
	v_add_f64 v[134:135], v[134:135], v[136:137]
	v_fmac_f64_e32 v[240:241], s[24:25], v[150:151]
	v_add_f64 v[134:135], v[132:133], v[134:135]
	v_fmac_f64_e32 v[236:237], s[26:27], v[154:155]
	v_add_f64 v[132:133], v[72:73], v[240:241]
	v_mul_f64 v[238:239], v[162:163], s[22:23]
	v_fmac_f64_e32 v[252:253], s[0:1], v[160:161]
	v_add_f64 v[132:133], v[236:237], v[132:133]
	v_mul_f64 v[234:235], v[170:171], s[40:41]
	v_fma_f64 v[240:241], s[16:17], v[152:153], v[238:239]
	v_mul_f64 v[178:179], v[156:157], s[22:23]
	v_fmac_f64_e32 v[228:229], s[20:21], v[168:169]
	v_add_f64 v[132:133], v[252:253], v[132:133]
	s_mov_b32 s35, 0xbfefc445
	v_mul_f64 v[222:223], v[180:181], s[36:37]
	v_fma_f64 v[236:237], s[24:25], v[158:159], v[234:235]
	v_add_f64 v[240:241], v[74:75], v[240:241]
	v_mul_f64 v[242:243], v[164:165], s[40:41]
	v_fma_f64 v[230:231], v[150:151], s[16:17], -v[178:179]
	v_fmac_f64_e32 v[142:143], s[30:31], v[176:177]
	v_add_f64 v[132:133], v[228:229], v[132:133]
	v_mul_f64 v[146:147], v[194:195], s[34:35]
	v_fma_f64 v[228:229], s[30:31], v[166:167], v[222:223]
	v_add_f64 v[236:237], v[236:237], v[240:241]
	v_mul_f64 v[252:253], v[172:173], s[36:37]
	v_fma_f64 v[244:245], v[154:155], s[24:25], -v[242:243]
	v_add_f64 v[230:231], v[72:73], v[230:231]
	v_fmac_f64_e32 v[138:139], s[16:17], v[188:189]
	v_add_f64 v[132:133], v[142:143], v[132:133]
	v_mul_f64 v[142:143], v[206:207], s[44:45]
	v_fma_f64 v[220:221], s[26:27], v[174:175], v[146:147]
	v_add_f64 v[228:229], v[228:229], v[236:237]
	v_mul_f64 v[240:241], v[182:183], s[34:35]
	v_fma_f64 v[254:255], v[160:161], s[30:31], -v[252:253]
	v_add_f64 v[230:231], v[244:245], v[230:231]
	v_add_f64 v[132:133], v[138:139], v[132:133]
	v_mul_f64 v[140:141], v[212:213], s[42:43]
	v_fma_f64 v[138:139], s[20:21], v[184:185], v[142:143]
	v_add_f64 v[220:221], v[220:221], v[228:229]
	v_mul_f64 v[228:229], v[196:197], s[44:45]
	v_fma_f64 v[250:251], v[168:169], s[26:27], -v[240:241]
	v_add_f64 v[230:231], v[254:255], v[230:231]
	v_fma_f64 v[136:137], s[0:1], v[192:193], v[140:141]
	v_add_f64 v[138:139], v[138:139], v[220:221]
	v_mul_f64 v[220:221], v[202:203], s[42:43]
	v_fma_f64 v[236:237], v[176:177], s[20:21], -v[228:229]
	v_add_f64 v[230:231], v[250:251], v[230:231]
	v_add_f64 v[138:139], v[136:137], v[138:139]
	v_fma_f64 v[136:137], v[188:189], s[0:1], -v[220:221]
	v_add_f64 v[230:231], v[236:237], v[230:231]
	v_add_f64 v[136:137], v[136:137], v[230:231]
	v_fma_f64 v[230:231], v[158:159], s[24:25], -v[234:235]
	v_fma_f64 v[234:235], v[152:153], s[16:17], -v[238:239]
	v_add_f64 v[234:235], v[74:75], v[234:235]
	v_fma_f64 v[222:223], v[166:167], s[30:31], -v[222:223]
	v_add_f64 v[230:231], v[230:231], v[234:235]
	;; [unrolled: 2-line block ×5, first 2 shown]
	v_fmac_f64_e32 v[178:179], s[16:17], v[150:151]
	v_add_f64 v[142:143], v[140:141], v[142:143]
	v_fmac_f64_e32 v[242:243], s[24:25], v[154:155]
	v_add_f64 v[140:141], v[72:73], v[178:179]
	v_fmac_f64_e32 v[252:253], s[30:31], v[160:161]
	v_add_f64 v[140:141], v[242:243], v[140:141]
	v_mul_f64 v[242:243], v[162:163], s[34:35]
	v_fmac_f64_e32 v[240:241], s[26:27], v[168:169]
	v_add_f64 v[140:141], v[252:253], v[140:141]
	s_mov_b32 s41, 0x3fedeba7
	s_mov_b32 s40, s22
	v_mul_f64 v[238:239], v[170:171], s[28:29]
	v_fma_f64 v[244:245], s[26:27], v[152:153], v[242:243]
	v_accvgpr_write_b32 a2, v120
	v_fmac_f64_e32 v[228:229], s[20:21], v[176:177]
	v_add_f64 v[140:141], v[240:241], v[140:141]
	v_mul_f64 v[234:235], v[180:181], s[40:41]
	v_fma_f64 v[240:241], s[20:21], v[158:159], v[238:239]
	v_add_f64 v[244:245], v[74:75], v[244:245]
	v_mul_f64 v[186:187], v[156:157], s[34:35]
	v_accvgpr_write_b32 a3, v121
	v_accvgpr_write_b32 a4, v122
	;; [unrolled: 1-line block ×3, first 2 shown]
	v_fmac_f64_e32 v[220:221], s[0:1], v[188:189]
	v_add_f64 v[140:141], v[228:229], v[140:141]
	v_mul_f64 v[228:229], v[194:195], s[36:37]
	v_fma_f64 v[236:237], s[16:17], v[166:167], v[234:235]
	v_add_f64 v[240:241], v[240:241], v[244:245]
	v_mul_f64 v[232:233], v[164:165], s[28:29]
	v_fma_f64 v[120:121], v[150:151], s[26:27], -v[186:187]
	v_add_f64 v[140:141], v[220:221], v[140:141]
	v_mul_f64 v[220:221], v[206:207], s[18:19]
	v_fma_f64 v[230:231], s[30:31], v[174:175], v[228:229]
	v_add_f64 v[236:237], v[236:237], v[240:241]
	v_mul_f64 v[254:255], v[172:173], s[40:41]
	v_fma_f64 v[226:227], v[154:155], s[20:21], -v[232:233]
	;; [unrolled: 6-line block ×3, first 2 shown]
	v_add_f64 v[120:121], v[226:227], v[120:121]
	v_fma_f64 v[178:179], s[24:25], v[192:193], v[146:147]
	v_add_f64 v[222:223], v[222:223], v[230:231]
	v_mul_f64 v[230:231], v[196:197], s[18:19]
	v_fma_f64 v[244:245], v[168:169], s[30:31], -v[240:241]
	v_add_f64 v[120:121], v[250:251], v[120:121]
	v_add_f64 v[252:253], v[178:179], v[222:223]
	v_mul_f64 v[178:179], v[202:203], s[38:39]
	v_fma_f64 v[236:237], v[176:177], s[0:1], -v[230:231]
	v_add_f64 v[120:121], v[244:245], v[120:121]
	v_fma_f64 v[222:223], v[188:189], s[24:25], -v[178:179]
	v_add_f64 v[120:121], v[236:237], v[120:121]
	;; [unrolled: 2-line block ×4, first 2 shown]
	v_fma_f64 v[122:123], v[184:185], s[0:1], -v[220:221]
	v_fma_f64 v[220:221], v[166:167], s[16:17], -v[234:235]
	v_add_f64 v[222:223], v[222:223], v[226:227]
	v_fma_f64 v[120:121], v[192:193], s[24:25], -v[146:147]
	v_fma_f64 v[146:147], v[174:175], s[30:31], -v[228:229]
	v_add_f64 v[220:221], v[220:221], v[222:223]
	v_add_f64 v[146:147], v[146:147], v[220:221]
	;; [unrolled: 1-line block ×3, first 2 shown]
	v_fmac_f64_e32 v[186:187], s[26:27], v[150:151]
	v_add_f64 v[222:223], v[120:121], v[122:123]
	v_fmac_f64_e32 v[232:233], s[20:21], v[154:155]
	v_add_f64 v[120:121], v[72:73], v[186:187]
	;; [unrolled: 2-line block ×6, first 2 shown]
	v_add_f64 v[220:221], v[178:179], v[120:121]
	v_accvgpr_read_b32 v179, a25
	v_accvgpr_read_b32 v187, a23
	;; [unrolled: 1-line block ×4, first 2 shown]
	v_add_f64 v[178:179], v[204:205], -v[178:179]
	v_add_f64 v[186:187], v[198:199], -v[186:187]
	v_accvgpr_read_b32 v199, a19
	v_accvgpr_read_b32 v205, a29
	;; [unrolled: 1-line block ×4, first 2 shown]
	v_add_f64 v[198:199], v[204:205], -v[198:199]
	v_add_f64 v[198:199], v[74:75], v[198:199]
	v_add_f64 v[186:187], v[186:187], v[198:199]
	;; [unrolled: 1-line block ×3, first 2 shown]
	v_accvgpr_read_b32 v187, a9
	v_accvgpr_read_b32 v147, a27
	;; [unrolled: 1-line block ×5, first 2 shown]
	v_add_f64 v[186:187], v[186:187], v[190:191]
	v_accvgpr_read_b32 v191, a7
	v_accvgpr_read_b32 v199, a17
	;; [unrolled: 1-line block ×4, first 2 shown]
	v_add_f64 v[146:147], v[210:211], -v[146:147]
	v_accvgpr_read_b32 v190, a6
	v_accvgpr_read_b32 v198, a16
	v_accvgpr_read_b32 v120, a32
	v_add_f64 v[122:123], v[216:217], -v[122:123]
	v_add_f64 v[146:147], v[146:147], v[178:179]
	v_accvgpr_read_b32 v179, a11
	v_add_f64 v[190:191], v[190:191], v[198:199]
	s_mov_b32 s37, 0xbfddbe06
	v_add_f64 v[120:121], v[224:225], -v[120:121]
	v_add_f64 v[122:123], v[122:123], v[146:147]
	v_accvgpr_read_b32 v147, a13
	v_accvgpr_read_b32 v178, a10
	v_add_f64 v[190:191], v[72:73], v[190:191]
	v_mul_f64 v[162:163], v[162:163], s[36:37]
	v_add_f64 v[210:211], v[120:121], v[122:123]
	v_accvgpr_read_b32 v123, a15
	v_accvgpr_read_b32 v146, a12
	v_add_f64 v[178:179], v[178:179], v[200:201]
	v_add_f64 v[186:187], v[186:187], v[190:191]
	v_mul_f64 v[170:171], v[170:171], s[18:19]
	v_fma_f64 v[200:201], s[30:31], v[152:153], v[162:163]
	v_fma_f64 v[152:153], v[152:153], s[30:31], -v[162:163]
	v_accvgpr_read_b32 v121, a21
	v_accvgpr_read_b32 v122, a14
	v_add_f64 v[146:147], v[146:147], v[208:209]
	v_add_f64 v[178:179], v[178:179], v[186:187]
	v_mul_f64 v[186:187], v[194:195], s[22:23]
	v_mul_f64 v[194:195], v[180:181], s[34:35]
	v_fma_f64 v[198:199], s[0:1], v[158:159], v[170:171]
	v_fma_f64 v[158:159], v[158:159], s[0:1], -v[170:171]
	v_add_f64 v[152:153], v[74:75], v[152:153]
	v_accvgpr_read_b32 v120, a20
	v_add_f64 v[122:123], v[122:123], v[214:215]
	v_add_f64 v[146:147], v[146:147], v[178:179]
	v_fma_f64 v[180:181], s[26:27], v[166:167], v[194:195]
	v_fma_f64 v[166:167], v[166:167], s[26:27], -v[194:195]
	v_add_f64 v[152:153], v[158:159], v[152:153]
	v_add_f64 v[120:121], v[120:121], v[218:219]
	v_add_f64 v[122:123], v[122:123], v[146:147]
	v_mul_f64 v[146:147], v[206:207], s[38:39]
	v_fma_f64 v[190:191], s[16:17], v[174:175], v[186:187]
	v_fma_f64 v[174:175], v[174:175], s[16:17], -v[186:187]
	v_add_f64 v[152:153], v[166:167], v[152:153]
	v_add_f64 v[208:209], v[120:121], v[122:123]
	v_mul_f64 v[120:121], v[212:213], s[28:29]
	v_fma_f64 v[178:179], s[24:25], v[184:185], v[146:147]
	v_mul_f64 v[156:157], v[156:157], s[36:37]
	v_fma_f64 v[146:147], v[184:185], s[24:25], -v[146:147]
	v_add_f64 v[152:153], v[174:175], v[152:153]
	v_fma_f64 v[122:123], s[20:21], v[192:193], v[120:121]
	v_fma_f64 v[204:205], v[150:151], s[30:31], -v[156:157]
	v_fma_f64 v[120:121], v[192:193], s[20:21], -v[120:121]
	v_add_f64 v[146:147], v[146:147], v[152:153]
	v_fmac_f64_e32 v[156:157], s[30:31], v[150:151]
	v_add_f64 v[204:205], v[72:73], v[204:205]
	v_add_f64 v[152:153], v[120:121], v[146:147]
	;; [unrolled: 1-line block ×21, first 2 shown]
	v_mul_f64 v[164:165], v[164:165], s[18:19]
	v_add_f64 v[74:75], v[74:75], v[98:99]
	v_add_f64 v[72:73], v[72:73], v[108:109]
	;; [unrolled: 1-line block ×3, first 2 shown]
	v_mul_f64 v[122:123], v[202:203], s[28:29]
	v_mul_f64 v[172:173], v[172:173], s[34:35]
	v_fma_f64 v[202:203], v[154:155], s[0:1], -v[164:165]
	v_fmac_f64_e32 v[164:165], s[0:1], v[154:155]
	v_add_f64 v[74:75], v[74:75], v[110:111]
	v_add_f64 v[72:73], v[72:73], v[104:105]
	v_mul_f64 v[182:183], v[182:183], s[22:23]
	v_fma_f64 v[200:201], v[160:161], s[26:27], -v[172:173]
	v_add_f64 v[202:203], v[202:203], v[204:205]
	v_fmac_f64_e32 v[172:173], s[26:27], v[160:161]
	v_add_f64 v[120:121], v[164:165], v[120:121]
	v_add_f64 v[74:75], v[74:75], v[106:107]
	;; [unrolled: 1-line block ×3, first 2 shown]
	v_mul_f64 v[190:191], v[196:197], s[38:39]
	v_fma_f64 v[198:199], v[168:169], s[16:17], -v[182:183]
	v_add_f64 v[200:201], v[200:201], v[202:203]
	v_fmac_f64_e32 v[182:183], s[16:17], v[168:169]
	v_add_f64 v[120:121], v[172:173], v[120:121]
	v_add_f64 v[74:75], v[74:75], v[114:115]
	;; [unrolled: 1-line block ×3, first 2 shown]
	v_fma_f64 v[196:197], v[176:177], s[24:25], -v[190:191]
	v_add_f64 v[198:199], v[198:199], v[200:201]
	v_fmac_f64_e32 v[190:191], s[24:25], v[176:177]
	v_add_f64 v[120:121], v[182:183], v[120:121]
	v_add_f64 v[74:75], v[74:75], v[118:119]
	v_add_f64 v[0:1], v[72:73], v[0:1]
	v_mul_lo_u16_e32 v72, 13, v144
	v_fma_f64 v[178:179], v[188:189], s[20:21], -v[122:123]
	v_add_f64 v[196:197], v[196:197], v[198:199]
	v_mov_b32_e32 v147, v149
	v_accvgpr_read_b32 v146, a0
	v_fmac_f64_e32 v[122:123], s[20:21], v[188:189]
	v_add_f64 v[120:121], v[190:191], v[120:121]
	v_add_f64 v[2:3], v[74:75], v[2:3]
	v_lshl_add_u32 v72, v72, 4, v246
	v_add_f64 v[178:179], v[178:179], v[196:197]
	v_add_f64 v[150:151], v[122:123], v[120:121]
	ds_write_b128 v72, v[0:3]
	ds_write_b128 v72, v[150:153] offset:16
	ds_write_b128 v72, v[208:211] offset:32
	;; [unrolled: 1-line block ×12, first 2 shown]
.LBB0_17:
	s_or_b64 exec, exec, s[6:7]
	s_waitcnt lgkmcnt(0)
	; wave barrier
	s_waitcnt lgkmcnt(0)
	ds_read_b128 v[0:3], v247
	ds_read_b128 v[72:75], v247 offset:416
	ds_read_b128 v[76:79], v247 offset:832
	;; [unrolled: 1-line block ×10, first 2 shown]
	s_waitcnt lgkmcnt(9)
	v_mul_f64 v[112:113], v[18:19], v[74:75]
	v_mul_f64 v[18:19], v[18:19], v[72:73]
	v_fmac_f64_e32 v[112:113], v[16:17], v[72:73]
	v_fma_f64 v[72:73], v[16:17], v[74:75], -v[18:19]
	s_waitcnt lgkmcnt(8)
	v_mul_f64 v[74:75], v[14:15], v[78:79]
	v_mul_f64 v[14:15], v[14:15], v[76:77]
	s_waitcnt lgkmcnt(6)
	v_mul_f64 v[16:17], v[6:7], v[86:87]
	v_mul_f64 v[6:7], v[6:7], v[84:85]
	v_fmac_f64_e32 v[74:75], v[12:13], v[76:77]
	v_fma_f64 v[76:77], v[12:13], v[78:79], -v[14:15]
	v_mul_f64 v[78:79], v[10:11], v[82:83]
	v_mul_f64 v[10:11], v[10:11], v[80:81]
	v_fmac_f64_e32 v[16:17], v[4:5], v[84:85]
	v_fma_f64 v[18:19], v[4:5], v[86:87], -v[6:7]
	s_waitcnt lgkmcnt(5)
	v_mul_f64 v[4:5], v[34:35], v[88:89]
	v_fmac_f64_e32 v[78:79], v[8:9], v[80:81]
	v_fma_f64 v[80:81], v[8:9], v[82:83], -v[10:11]
	v_fma_f64 v[10:11], v[32:33], v[90:91], -v[4:5]
	s_waitcnt lgkmcnt(4)
	v_mul_f64 v[12:13], v[30:31], v[94:95]
	v_mul_f64 v[4:5], v[30:31], v[92:93]
	v_fmac_f64_e32 v[12:13], v[28:29], v[92:93]
	v_fma_f64 v[14:15], v[28:29], v[94:95], -v[4:5]
	s_waitcnt lgkmcnt(3)
	v_mul_f64 v[28:29], v[26:27], v[98:99]
	v_mul_f64 v[4:5], v[26:27], v[96:97]
	v_fmac_f64_e32 v[28:29], v[24:25], v[96:97]
	v_fma_f64 v[24:25], v[24:25], v[98:99], -v[4:5]
	s_waitcnt lgkmcnt(2)
	v_mul_f64 v[26:27], v[22:23], v[102:103]
	v_mul_f64 v[4:5], v[22:23], v[100:101]
	v_add_f64 v[6:7], v[2:3], v[72:73]
	v_fmac_f64_e32 v[26:27], v[20:21], v[100:101]
	v_fma_f64 v[20:21], v[20:21], v[102:103], -v[4:5]
	s_waitcnt lgkmcnt(1)
	v_mul_f64 v[4:5], v[42:43], v[104:105]
	v_add_f64 v[6:7], v[6:7], v[76:77]
	v_fma_f64 v[30:31], v[40:41], v[106:107], -v[4:5]
	s_waitcnt lgkmcnt(0)
	v_mul_f64 v[4:5], v[38:39], v[108:109]
	v_add_f64 v[6:7], v[6:7], v[80:81]
	v_mul_f64 v[8:9], v[34:35], v[90:91]
	v_fma_f64 v[34:35], v[36:37], v[110:111], -v[4:5]
	v_add_f64 v[4:5], v[0:1], v[112:113]
	v_add_f64 v[6:7], v[6:7], v[18:19]
	;; [unrolled: 1-line block ×6, first 2 shown]
	v_fmac_f64_e32 v[8:9], v[32:33], v[88:89]
	v_add_f64 v[4:5], v[4:5], v[16:17]
	v_add_f64 v[6:7], v[6:7], v[24:25]
	;; [unrolled: 1-line block ×4, first 2 shown]
	v_mul_f64 v[32:33], v[38:39], v[110:111]
	v_add_f64 v[4:5], v[4:5], v[12:13]
	v_add_f64 v[6:7], v[6:7], v[30:31]
	s_mov_b32 s22, 0xf8bb580b
	s_mov_b32 s6, 0x8eee2c13
	;; [unrolled: 1-line block ×5, first 2 shown]
	v_mul_f64 v[22:23], v[42:43], v[106:107]
	v_fmac_f64_e32 v[32:33], v[36:37], v[108:109]
	v_add_f64 v[4:5], v[4:5], v[28:29]
	v_add_f64 v[6:7], v[6:7], v[34:35]
	;; [unrolled: 1-line block ×3, first 2 shown]
	v_add_f64 v[34:35], v[72:73], -v[34:35]
	s_mov_b32 s23, 0xbfe14ced
	s_mov_b32 s24, 0x8764f0ba
	;; [unrolled: 1-line block ×10, first 2 shown]
	v_fmac_f64_e32 v[22:23], v[40:41], v[104:105]
	v_add_f64 v[4:5], v[4:5], v[26:27]
	v_add_f64 v[36:37], v[112:113], v[32:33]
	v_mul_f64 v[40:41], v[34:35], s[22:23]
	s_mov_b32 s25, 0x3feaeb8c
	v_mul_f64 v[84:85], v[34:35], s[6:7]
	s_mov_b32 s17, 0x3fda9628
	;; [unrolled: 2-line block ×5, first 2 shown]
	v_add_f64 v[4:5], v[4:5], v[22:23]
	v_fma_f64 v[42:43], s[24:25], v[36:37], v[40:41]
	v_fma_f64 v[40:41], v[36:37], s[24:25], -v[40:41]
	v_fma_f64 v[86:87], s[16:17], v[36:37], v[84:85]
	v_fma_f64 v[84:85], v[36:37], s[16:17], -v[84:85]
	v_fma_f64 v[94:95], s[20:21], v[36:37], v[92:93]
	v_fma_f64 v[92:93], v[36:37], s[20:21], -v[92:93]
	v_fma_f64 v[102:103], s[34:35], v[36:37], v[100:101]
	v_fma_f64 v[100:101], v[36:37], s[34:35], -v[100:101]
	v_fma_f64 v[108:109], s[40:41], v[36:37], v[34:35]
	v_fma_f64 v[34:35], v[36:37], s[40:41], -v[34:35]
	v_add_f64 v[4:5], v[4:5], v[32:33]
	v_add_f64 v[32:33], v[112:113], -v[32:33]
	v_add_f64 v[42:43], v[0:1], v[42:43]
	v_mul_f64 v[72:73], v[38:39], s[24:25]
	s_mov_b32 s27, 0x3fe14ced
	s_mov_b32 s26, s22
	v_add_f64 v[40:41], v[0:1], v[40:41]
	v_add_f64 v[86:87], v[0:1], v[86:87]
	v_mul_f64 v[88:89], v[38:39], s[16:17]
	s_mov_b32 s19, 0x3fed1bb4
	s_mov_b32 s18, s6
	v_add_f64 v[84:85], v[0:1], v[84:85]
	;; [unrolled: 5-line block ×5, first 2 shown]
	v_add_f64 v[34:35], v[76:77], v[30:31]
	v_add_f64 v[30:31], v[76:77], -v[30:31]
	v_fma_f64 v[82:83], s[26:27], v[32:33], v[72:73]
	v_fmac_f64_e32 v[72:73], s[22:23], v[32:33]
	v_fma_f64 v[90:91], s[18:19], v[32:33], v[88:89]
	v_fmac_f64_e32 v[88:89], s[6:7], v[32:33]
	;; [unrolled: 2-line block ×5, first 2 shown]
	v_add_f64 v[32:33], v[74:75], v[22:23]
	v_mul_f64 v[36:37], v[30:31], s[6:7]
	v_add_f64 v[82:83], v[2:3], v[82:83]
	v_add_f64 v[72:73], v[2:3], v[72:73]
	;; [unrolled: 1-line block ×10, first 2 shown]
	v_fma_f64 v[38:39], s[16:17], v[32:33], v[36:37]
	v_add_f64 v[22:23], v[74:75], -v[22:23]
	v_add_f64 v[38:39], v[38:39], v[42:43]
	v_mul_f64 v[42:43], v[34:35], s[16:17]
	v_fma_f64 v[74:75], s[18:19], v[22:23], v[42:43]
	v_fma_f64 v[36:37], v[32:33], s[16:17], -v[36:37]
	v_fmac_f64_e32 v[42:43], s[6:7], v[22:23]
	v_add_f64 v[36:37], v[36:37], v[40:41]
	v_add_f64 v[40:41], v[42:43], v[72:73]
	v_mul_f64 v[42:43], v[30:31], s[30:31]
	v_fma_f64 v[72:73], s[34:35], v[32:33], v[42:43]
	v_fma_f64 v[42:43], v[32:33], s[34:35], -v[42:43]
	v_add_f64 v[42:43], v[42:43], v[84:85]
	v_mul_f64 v[84:85], v[30:31], s[42:43]
	v_add_f64 v[72:73], v[72:73], v[86:87]
	v_mul_f64 v[76:77], v[34:35], s[34:35]
	v_fma_f64 v[86:87], s[40:41], v[32:33], v[84:85]
	v_fma_f64 v[84:85], v[32:33], s[40:41], -v[84:85]
	v_add_f64 v[74:75], v[74:75], v[82:83]
	v_fma_f64 v[82:83], s[36:37], v[22:23], v[76:77]
	v_fmac_f64_e32 v[76:77], s[30:31], v[22:23]
	v_add_f64 v[84:85], v[84:85], v[92:93]
	v_mul_f64 v[92:93], v[30:31], s[28:29]
	v_add_f64 v[76:77], v[76:77], v[88:89]
	v_add_f64 v[86:87], v[86:87], v[94:95]
	v_mul_f64 v[88:89], v[34:35], s[40:41]
	v_fma_f64 v[94:95], s[20:21], v[32:33], v[92:93]
	v_fma_f64 v[92:93], v[32:33], s[20:21], -v[92:93]
	v_mul_f64 v[30:31], v[30:31], s[26:27]
	v_add_f64 v[82:83], v[82:83], v[90:91]
	v_fma_f64 v[90:91], s[38:39], v[22:23], v[88:89]
	v_fmac_f64_e32 v[88:89], s[42:43], v[22:23]
	v_add_f64 v[92:93], v[92:93], v[100:101]
	v_fma_f64 v[100:101], s[24:25], v[32:33], v[30:31]
	v_fma_f64 v[30:31], v[32:33], s[24:25], -v[30:31]
	v_add_f64 v[88:89], v[88:89], v[96:97]
	v_mul_f64 v[96:97], v[34:35], s[20:21]
	v_mul_f64 v[34:35], v[34:35], s[24:25]
	v_add_f64 v[0:1], v[30:31], v[0:1]
	v_add_f64 v[30:31], v[80:81], v[20:21]
	v_add_f64 v[20:21], v[80:81], -v[20:21]
	v_add_f64 v[90:91], v[90:91], v[98:99]
	v_add_f64 v[94:95], v[94:95], v[102:103]
	v_fma_f64 v[98:99], s[0:1], v[22:23], v[96:97]
	v_fmac_f64_e32 v[96:97], s[28:29], v[22:23]
	v_fma_f64 v[102:103], s[22:23], v[22:23], v[34:35]
	v_fmac_f64_e32 v[34:35], s[26:27], v[22:23]
	v_add_f64 v[22:23], v[78:79], v[26:27]
	v_mul_f64 v[32:33], v[20:21], s[0:1]
	v_add_f64 v[2:3], v[34:35], v[2:3]
	v_fma_f64 v[34:35], s[20:21], v[22:23], v[32:33]
	v_add_f64 v[26:27], v[78:79], -v[26:27]
	v_add_f64 v[34:35], v[34:35], v[38:39]
	v_mul_f64 v[38:39], v[30:31], s[20:21]
	v_fma_f64 v[78:79], s[28:29], v[26:27], v[38:39]
	v_fma_f64 v[32:33], v[22:23], s[20:21], -v[32:33]
	v_fmac_f64_e32 v[38:39], s[0:1], v[26:27]
	v_add_f64 v[32:33], v[32:33], v[36:37]
	v_add_f64 v[36:37], v[38:39], v[40:41]
	v_mul_f64 v[38:39], v[20:21], s[42:43]
	v_fma_f64 v[40:41], s[40:41], v[22:23], v[38:39]
	v_add_f64 v[40:41], v[40:41], v[72:73]
	v_mul_f64 v[72:73], v[30:31], s[40:41]
	v_add_f64 v[74:75], v[78:79], v[74:75]
	v_fma_f64 v[78:79], s[38:39], v[26:27], v[72:73]
	v_fma_f64 v[38:39], v[22:23], s[40:41], -v[38:39]
	v_fmac_f64_e32 v[72:73], s[42:43], v[26:27]
	v_add_f64 v[38:39], v[38:39], v[42:43]
	v_add_f64 v[42:43], v[72:73], v[76:77]
	v_mul_f64 v[72:73], v[20:21], s[18:19]
	v_fma_f64 v[76:77], s[16:17], v[22:23], v[72:73]
	v_fma_f64 v[72:73], v[22:23], s[16:17], -v[72:73]
	v_add_f64 v[72:73], v[72:73], v[84:85]
	v_mul_f64 v[84:85], v[20:21], s[22:23]
	v_add_f64 v[76:77], v[76:77], v[86:87]
	v_mul_f64 v[80:81], v[30:31], s[16:17]
	v_fma_f64 v[86:87], s[24:25], v[22:23], v[84:85]
	v_fma_f64 v[84:85], v[22:23], s[24:25], -v[84:85]
	v_mul_f64 v[20:21], v[20:21], s[30:31]
	v_add_f64 v[78:79], v[78:79], v[82:83]
	v_fma_f64 v[82:83], s[6:7], v[26:27], v[80:81]
	v_fmac_f64_e32 v[80:81], s[18:19], v[26:27]
	v_add_f64 v[84:85], v[84:85], v[92:93]
	v_fma_f64 v[92:93], s[34:35], v[22:23], v[20:21]
	v_fma_f64 v[20:21], v[22:23], s[34:35], -v[20:21]
	v_add_f64 v[22:23], v[18:19], v[24:25]
	v_add_f64 v[18:19], v[18:19], -v[24:25]
	v_add_f64 v[80:81], v[80:81], v[88:89]
	v_mul_f64 v[88:89], v[30:31], s[24:25]
	v_mul_f64 v[30:31], v[30:31], s[34:35]
	v_add_f64 v[0:1], v[20:21], v[0:1]
	v_add_f64 v[20:21], v[16:17], v[28:29]
	v_mul_f64 v[24:25], v[18:19], s[30:31]
	v_add_f64 v[82:83], v[82:83], v[90:91]
	v_add_f64 v[86:87], v[86:87], v[94:95]
	v_fma_f64 v[90:91], s[26:27], v[26:27], v[88:89]
	v_fmac_f64_e32 v[88:89], s[22:23], v[26:27]
	v_fma_f64 v[94:95], s[36:37], v[26:27], v[30:31]
	v_fmac_f64_e32 v[30:31], s[30:31], v[26:27]
	v_add_f64 v[16:17], v[16:17], -v[28:29]
	v_fma_f64 v[26:27], s[34:35], v[20:21], v[24:25]
	v_mul_f64 v[28:29], v[22:23], s[34:35]
	v_fma_f64 v[24:25], v[20:21], s[34:35], -v[24:25]
	v_add_f64 v[2:3], v[30:31], v[2:3]
	v_fma_f64 v[30:31], s[36:37], v[16:17], v[28:29]
	v_add_f64 v[24:25], v[24:25], v[32:33]
	v_fmac_f64_e32 v[28:29], s[30:31], v[16:17]
	v_mul_f64 v[32:33], v[18:19], s[28:29]
	v_add_f64 v[26:27], v[26:27], v[34:35]
	v_add_f64 v[28:29], v[28:29], v[36:37]
	v_fma_f64 v[34:35], s[20:21], v[20:21], v[32:33]
	v_mul_f64 v[36:37], v[22:23], s[20:21]
	v_fma_f64 v[32:33], v[20:21], s[20:21], -v[32:33]
	v_add_f64 v[34:35], v[34:35], v[40:41]
	v_fma_f64 v[40:41], s[0:1], v[16:17], v[36:37]
	v_add_f64 v[32:33], v[32:33], v[38:39]
	v_fmac_f64_e32 v[36:37], s[28:29], v[16:17]
	v_mul_f64 v[38:39], v[18:19], s[22:23]
	v_add_f64 v[30:31], v[30:31], v[74:75]
	v_add_f64 v[36:37], v[36:37], v[42:43]
	v_fma_f64 v[42:43], s[24:25], v[20:21], v[38:39]
	v_mul_f64 v[74:75], v[22:23], s[24:25]
	v_add_f64 v[42:43], v[42:43], v[76:77]
	v_fma_f64 v[76:77], s[26:27], v[16:17], v[74:75]
	v_fma_f64 v[38:39], v[20:21], s[24:25], -v[38:39]
	v_fmac_f64_e32 v[74:75], s[22:23], v[16:17]
	v_add_f64 v[38:39], v[38:39], v[72:73]
	v_add_f64 v[72:73], v[74:75], v[80:81]
	v_mul_f64 v[74:75], v[18:19], s[38:39]
	v_add_f64 v[98:99], v[98:99], v[106:107]
	v_add_f64 v[96:97], v[96:97], v[104:105]
	;; [unrolled: 1-line block ×4, first 2 shown]
	v_fma_f64 v[78:79], s[40:41], v[20:21], v[74:75]
	v_mul_f64 v[80:81], v[22:23], s[40:41]
	v_fma_f64 v[74:75], v[20:21], s[40:41], -v[74:75]
	v_mul_f64 v[18:19], v[18:19], s[18:19]
	v_add_f64 v[102:103], v[102:103], v[110:111]
	v_add_f64 v[90:91], v[90:91], v[98:99]
	;; [unrolled: 1-line block ×5, first 2 shown]
	v_fma_f64 v[82:83], s[42:43], v[16:17], v[80:81]
	v_add_f64 v[74:75], v[74:75], v[84:85]
	v_fmac_f64_e32 v[80:81], s[38:39], v[16:17]
	v_fma_f64 v[84:85], s[16:17], v[20:21], v[18:19]
	v_mul_f64 v[22:23], v[22:23], s[16:17]
	v_fma_f64 v[18:19], v[20:21], s[16:17], -v[18:19]
	v_add_f64 v[98:99], v[10:11], -v[14:15]
	v_add_f64 v[94:95], v[94:95], v[102:103]
	v_add_f64 v[78:79], v[78:79], v[86:87]
	;; [unrolled: 1-line block ×4, first 2 shown]
	v_fma_f64 v[86:87], s[6:7], v[16:17], v[22:23]
	v_add_f64 v[88:89], v[18:19], v[0:1]
	v_fmac_f64_e32 v[22:23], s[18:19], v[16:17]
	v_add_f64 v[92:93], v[8:9], v[12:13]
	v_mul_f64 v[0:1], v[98:99], s[38:39]
	v_add_f64 v[82:83], v[82:83], v[90:91]
	v_add_f64 v[86:87], v[86:87], v[94:95]
	;; [unrolled: 1-line block ×4, first 2 shown]
	v_fma_f64 v[2:3], s[40:41], v[92:93], v[0:1]
	v_fma_f64 v[0:1], v[92:93], s[40:41], -v[0:1]
	v_add_f64 v[96:97], v[8:9], -v[12:13]
	v_add_f64 v[0:1], v[0:1], v[24:25]
	v_mul_f64 v[16:17], v[98:99], s[26:27]
	v_mul_f64 v[18:19], v[94:95], s[24:25]
	;; [unrolled: 1-line block ×3, first 2 shown]
	v_add_f64 v[8:9], v[2:3], v[26:27]
	v_mul_f64 v[2:3], v[94:95], s[40:41]
	v_fma_f64 v[12:13], s[24:25], v[92:93], v[16:17]
	v_fma_f64 v[14:15], s[22:23], v[96:97], v[18:19]
	v_fma_f64 v[16:17], v[92:93], s[24:25], -v[16:17]
	v_fma_f64 v[20:21], s[34:35], v[92:93], v[24:25]
	v_fma_f64 v[10:11], s[42:43], v[96:97], v[2:3]
	v_fmac_f64_e32 v[2:3], s[38:39], v[96:97]
	v_add_f64 v[12:13], v[12:13], v[34:35]
	v_add_f64 v[14:15], v[14:15], v[40:41]
	;; [unrolled: 1-line block ×3, first 2 shown]
	v_fmac_f64_e32 v[18:19], s[26:27], v[96:97]
	v_add_f64 v[20:21], v[20:21], v[42:43]
	v_mul_f64 v[26:27], v[94:95], s[34:35]
	v_fma_f64 v[24:25], v[92:93], s[34:35], -v[24:25]
	v_mul_f64 v[32:33], v[98:99], s[18:19]
	v_mul_f64 v[34:35], v[94:95], s[16:17]
	;; [unrolled: 1-line block ×4, first 2 shown]
	v_add_f64 v[10:11], v[10:11], v[30:31]
	v_add_f64 v[2:3], v[2:3], v[28:29]
	;; [unrolled: 1-line block ×3, first 2 shown]
	v_fma_f64 v[22:23], s[36:37], v[96:97], v[26:27]
	v_add_f64 v[24:25], v[24:25], v[38:39]
	v_fmac_f64_e32 v[26:27], s[30:31], v[96:97]
	v_fma_f64 v[28:29], s[16:17], v[92:93], v[32:33]
	v_fma_f64 v[30:31], s[6:7], v[96:97], v[34:35]
	v_fma_f64 v[32:33], v[92:93], s[16:17], -v[32:33]
	v_fmac_f64_e32 v[34:35], s[18:19], v[96:97]
	v_fma_f64 v[36:37], s[20:21], v[92:93], v[40:41]
	v_fma_f64 v[38:39], s[28:29], v[96:97], v[42:43]
	v_fma_f64 v[40:41], v[92:93], s[20:21], -v[40:41]
	v_fmac_f64_e32 v[42:43], s[0:1], v[96:97]
	v_add_f64 v[22:23], v[22:23], v[76:77]
	v_add_f64 v[26:27], v[26:27], v[72:73]
	;; [unrolled: 1-line block ×10, first 2 shown]
	s_waitcnt lgkmcnt(0)
	; wave barrier
	ds_write_b128 v248, v[4:7]
	ds_write_b128 v248, v[8:11] offset:208
	ds_write_b128 v248, v[12:15] offset:416
	;; [unrolled: 1-line block ×10, first 2 shown]
	s_waitcnt lgkmcnt(0)
	; wave barrier
	s_waitcnt lgkmcnt(0)
	ds_read_b128 v[20:23], v247
	ds_read_b128 v[16:19], v247 offset:416
	ds_read_b128 v[36:39], v247 offset:2704
	;; [unrolled: 1-line block ×9, first 2 shown]
	v_add_u32_e32 v72, 0x680, v249
	s_and_saveexec_b64 s[0:1], s[2:3]
	s_cbranch_execz .LBB0_19
; %bb.18:
	ds_read_b128 v[0:3], v247 offset:2080
	ds_read_b128 v[68:71], v247 offset:4368
.LBB0_19:
	s_or_b64 exec, exec, s[0:1]
	s_waitcnt lgkmcnt(3)
	v_mul_f64 v[74:75], v[50:51], v[42:43]
	v_fmac_f64_e32 v[74:75], v[48:49], v[40:41]
	v_mul_f64 v[40:41], v[50:51], v[40:41]
	v_fma_f64 v[40:41], v[48:49], v[42:43], -v[40:41]
	v_mul_f64 v[42:43], v[54:55], v[38:39]
	v_fmac_f64_e32 v[42:43], v[52:53], v[36:37]
	v_mul_f64 v[36:37], v[54:55], v[36:37]
	v_fma_f64 v[36:37], v[52:53], v[38:39], -v[36:37]
	v_mul_f64 v[38:39], v[58:59], v[30:31]
	v_fmac_f64_e32 v[38:39], v[56:57], v[28:29]
	v_mul_f64 v[28:29], v[58:59], v[28:29]
	s_waitcnt lgkmcnt(0)
	v_mul_f64 v[54:55], v[66:67], v[26:27]
	v_fma_f64 v[48:49], v[56:57], v[30:31], -v[28:29]
	v_mul_f64 v[50:51], v[62:63], v[34:35]
	v_mul_f64 v[28:29], v[62:63], v[32:33]
	v_fmac_f64_e32 v[54:55], v[64:65], v[24:25]
	v_mul_f64 v[24:25], v[66:67], v[24:25]
	v_fmac_f64_e32 v[50:51], v[60:61], v[32:33]
	v_fma_f64 v[52:53], v[60:61], v[34:35], -v[28:29]
	v_fma_f64 v[56:57], v[64:65], v[26:27], -v[24:25]
	v_add_f64 v[24:25], v[20:21], -v[74:75]
	v_add_f64 v[26:27], v[22:23], -v[40:41]
	v_fma_f64 v[20:21], v[20:21], 2.0, -v[24:25]
	v_fma_f64 v[22:23], v[22:23], 2.0, -v[26:27]
	v_add_f64 v[28:29], v[16:17], -v[42:43]
	v_add_f64 v[30:31], v[18:19], -v[36:37]
	;; [unrolled: 1-line block ×8, first 2 shown]
	v_fma_f64 v[16:17], v[16:17], 2.0, -v[28:29]
	v_fma_f64 v[18:19], v[18:19], 2.0, -v[30:31]
	;; [unrolled: 1-line block ×8, first 2 shown]
	ds_write_b128 v145, v[20:23]
	ds_write_b128 v145, v[24:27] offset:2288
	ds_write_b128 v145, v[16:19] offset:416
	;; [unrolled: 1-line block ×9, first 2 shown]
	s_and_saveexec_b64 s[0:1], s[2:3]
	s_cbranch_execz .LBB0_21
; %bb.20:
	v_mul_f64 v[4:5], v[46:47], v[68:69]
	v_fma_f64 v[4:5], v[44:45], v[70:71], -v[4:5]
	v_add_f64 v[4:5], v[2:3], -v[4:5]
	v_fma_f64 v[8:9], v[2:3], 2.0, -v[4:5]
	v_mul_f64 v[2:3], v[46:47], v[70:71]
	v_fmac_f64_e32 v[2:3], v[44:45], v[68:69]
	v_add_f64 v[2:3], v[0:1], -v[2:3]
	v_fma_f64 v[6:7], v[0:1], 2.0, -v[2:3]
	ds_write_b128 v145, v[6:9] offset:2080
	ds_write_b128 v145, v[2:5] offset:4368
.LBB0_21:
	s_or_b64 exec, exec, s[0:1]
	s_waitcnt lgkmcnt(0)
	; wave barrier
	s_waitcnt lgkmcnt(0)
	s_and_b64 exec, exec, s[4:5]
	s_cbranch_execz .LBB0_23
; %bb.22:
	global_load_dwordx4 v[0:3], v148, s[12:13]
	global_load_dwordx4 v[4:7], v148, s[12:13] offset:352
	global_load_dwordx4 v[8:11], v148, s[12:13] offset:704
	;; [unrolled: 1-line block ×11, first 2 shown]
	v_mad_u64_u32 v[74:75], s[0:1], s10, v146, 0
	v_mad_u64_u32 v[76:77], s[2:3], s8, v144, 0
	v_mov_b32_e32 v78, v75
	v_mov_b32_e32 v82, v77
	v_mad_u64_u32 v[78:79], s[4:5], s11, v146, v[78:79]
	v_mov_b32_e32 v72, s14
	v_mov_b32_e32 v73, s15
	;; [unrolled: 3-line block ×3, first 2 shown]
	v_lshl_add_u64 v[72:73], v[74:75], 4, v[72:73]
	v_mov_b32_e32 v93, 0x160
	v_lshl_add_u64 v[72:73], v[76:77], 4, v[72:73]
	s_mul_i32 s2, s9, 0x160
	v_mad_u64_u32 v[74:75], s[4:5], s8, v93, v[72:73]
	v_lshl_add_u32 v92, v147, 4, v148
	ds_read_b128 v[48:51], v145
	ds_read_b128 v[52:55], v92 offset:352
	ds_read_b128 v[56:59], v92 offset:704
	;; [unrolled: 1-line block ×5, first 2 shown]
	v_add_u32_e32 v75, s2, v75
	v_mad_u64_u32 v[76:77], s[4:5], s8, v93, v[74:75]
	s_mov_b32 s0, 0x55ee191
	v_add_u32_e32 v77, s2, v77
	s_mov_b32 s1, 0x3f6ca4b3
	v_mad_u64_u32 v[78:79], s[4:5], s8, v93, v[76:77]
	v_add_u32_e32 v79, s2, v79
	v_mov_b32_e32 v149, 0
	v_lshl_add_u64 v[80:81], s[12:13], 0, v[148:149]
	s_movk_i32 s3, 0x1000
	s_waitcnt vmcnt(11) lgkmcnt(5)
	v_mul_f64 v[82:83], v[50:51], v[2:3]
	v_mul_f64 v[2:3], v[48:49], v[2:3]
	s_waitcnt vmcnt(9) lgkmcnt(3)
	v_mul_f64 v[86:87], v[58:59], v[10:11]
	v_mul_f64 v[84:85], v[54:55], v[6:7]
	;; [unrolled: 1-line block ×4, first 2 shown]
	s_waitcnt vmcnt(8) lgkmcnt(2)
	v_mul_f64 v[88:89], v[62:63], v[14:15]
	v_mul_f64 v[14:15], v[60:61], v[14:15]
	v_fmac_f64_e32 v[82:83], v[48:49], v[0:1]
	v_fma_f64 v[2:3], v[0:1], v[50:51], -v[2:3]
	v_fmac_f64_e32 v[86:87], v[56:57], v[8:9]
	v_fmac_f64_e32 v[84:85], v[52:53], v[4:5]
	v_fma_f64 v[6:7], v[4:5], v[54:55], -v[6:7]
	v_fma_f64 v[10:11], v[8:9], v[58:59], -v[10:11]
	v_fmac_f64_e32 v[88:89], v[60:61], v[12:13]
	v_fma_f64 v[14:15], v[12:13], v[62:63], -v[14:15]
	v_mul_f64 v[0:1], v[82:83], s[0:1]
	v_mul_f64 v[2:3], v[2:3], s[0:1]
	;; [unrolled: 1-line block ×8, first 2 shown]
	global_store_dwordx4 v[72:73], v[0:3], off
	global_store_dwordx4 v[74:75], v[4:7], off
	;; [unrolled: 1-line block ×4, first 2 shown]
	s_waitcnt vmcnt(11) lgkmcnt(1)
	v_mul_f64 v[90:91], v[66:67], v[18:19]
	v_mad_u64_u32 v[8:9], s[4:5], s8, v93, v[78:79]
	v_mul_f64 v[18:19], v[64:65], v[18:19]
	v_add_u32_e32 v9, s2, v9
	s_waitcnt vmcnt(10) lgkmcnt(0)
	v_mul_f64 v[0:1], v[70:71], v[22:23]
	v_mul_f64 v[2:3], v[68:69], v[22:23]
	ds_read_b128 v[4:7], v92 offset:2112
	v_fmac_f64_e32 v[90:91], v[64:65], v[16:17]
	v_fma_f64 v[18:19], v[16:17], v[66:67], -v[18:19]
	v_fmac_f64_e32 v[0:1], v[68:69], v[20:21]
	v_fma_f64 v[2:3], v[20:21], v[70:71], -v[2:3]
	v_mad_u64_u32 v[12:13], s[4:5], s8, v93, v[8:9]
	v_mul_f64 v[16:17], v[90:91], s[0:1]
	v_mul_f64 v[18:19], v[18:19], s[0:1]
	;; [unrolled: 1-line block ×4, first 2 shown]
	v_add_u32_e32 v13, s2, v13
	global_store_dwordx4 v[8:9], v[16:19], off
	global_store_dwordx4 v[12:13], v[0:3], off
	ds_read_b128 v[0:3], v92 offset:2464
	s_waitcnt vmcnt(11) lgkmcnt(1)
	v_mul_f64 v[8:9], v[6:7], v[26:27]
	v_fmac_f64_e32 v[8:9], v[4:5], v[24:25]
	v_mul_f64 v[4:5], v[4:5], v[26:27]
	v_fma_f64 v[4:5], v[24:25], v[6:7], -v[4:5]
	v_mul_f64 v[10:11], v[4:5], s[0:1]
	s_waitcnt vmcnt(10) lgkmcnt(0)
	v_mul_f64 v[4:5], v[2:3], v[30:31]
	v_fmac_f64_e32 v[4:5], v[0:1], v[28:29]
	v_mul_f64 v[0:1], v[0:1], v[30:31]
	v_mad_u64_u32 v[12:13], s[4:5], s8, v93, v[12:13]
	v_fma_f64 v[0:1], v[28:29], v[2:3], -v[0:1]
	v_mul_f64 v[8:9], v[8:9], s[0:1]
	v_add_u32_e32 v13, s2, v13
	v_mul_f64 v[6:7], v[0:1], s[0:1]
	ds_read_b128 v[0:3], v92 offset:2816
	global_store_dwordx4 v[12:13], v[8:11], off
	v_mad_u64_u32 v[12:13], s[4:5], s8, v93, v[12:13]
	v_mul_f64 v[4:5], v[4:5], s[0:1]
	v_add_u32_e32 v13, s2, v13
	global_store_dwordx4 v[12:13], v[4:7], off
	ds_read_b128 v[4:7], v92 offset:3168
	s_waitcnt vmcnt(11) lgkmcnt(1)
	v_mul_f64 v[8:9], v[2:3], v[34:35]
	v_fmac_f64_e32 v[8:9], v[0:1], v[32:33]
	v_mul_f64 v[0:1], v[0:1], v[34:35]
	v_fma_f64 v[0:1], v[32:33], v[2:3], -v[0:1]
	v_mul_f64 v[10:11], v[0:1], s[0:1]
	v_mad_u64_u32 v[12:13], s[4:5], s8, v93, v[12:13]
	s_waitcnt vmcnt(10) lgkmcnt(0)
	v_mul_f64 v[0:1], v[6:7], v[38:39]
	v_mul_f64 v[2:3], v[4:5], v[38:39]
	;; [unrolled: 1-line block ×3, first 2 shown]
	v_add_u32_e32 v13, s2, v13
	v_fmac_f64_e32 v[0:1], v[4:5], v[36:37]
	v_fma_f64 v[2:3], v[36:37], v[6:7], -v[2:3]
	ds_read_b128 v[4:7], v92 offset:3520
	global_store_dwordx4 v[12:13], v[8:11], off
	v_mad_u64_u32 v[12:13], s[4:5], s8, v93, v[12:13]
	v_mul_f64 v[0:1], v[0:1], s[0:1]
	v_mul_f64 v[2:3], v[2:3], s[0:1]
	v_add_u32_e32 v13, s2, v13
	global_store_dwordx4 v[12:13], v[0:3], off
	ds_read_b128 v[0:3], v92 offset:3872
	s_waitcnt vmcnt(11) lgkmcnt(1)
	v_mul_f64 v[8:9], v[6:7], v[42:43]
	v_fmac_f64_e32 v[8:9], v[4:5], v[40:41]
	v_mul_f64 v[4:5], v[4:5], v[42:43]
	v_fma_f64 v[4:5], v[40:41], v[6:7], -v[4:5]
	v_mul_f64 v[10:11], v[4:5], s[0:1]
	v_mad_u64_u32 v[12:13], s[4:5], s8, v93, v[12:13]
	s_waitcnt vmcnt(10) lgkmcnt(0)
	v_mul_f64 v[4:5], v[2:3], v[46:47]
	v_mul_f64 v[8:9], v[8:9], s[0:1]
	v_add_u32_e32 v13, s2, v13
	v_fmac_f64_e32 v[4:5], v[0:1], v[44:45]
	v_mul_f64 v[0:1], v[0:1], v[46:47]
	global_store_dwordx4 v[12:13], v[8:11], off
	v_fma_f64 v[0:1], v[44:45], v[2:3], -v[0:1]
	v_mad_u64_u32 v[12:13], s[4:5], s8, v93, v[12:13]
	v_mul_f64 v[4:5], v[4:5], s[0:1]
	v_mul_f64 v[6:7], v[0:1], s[0:1]
	v_add_u32_e32 v13, s2, v13
	v_add_co_u32_e32 v0, vcc, s3, v80
	global_store_dwordx4 v[12:13], v[4:7], off
	s_nop 0
	v_addc_co_u32_e32 v1, vcc, 0, v81, vcc
	global_load_dwordx4 v[0:3], v[0:1], off offset:128
	ds_read_b128 v[4:7], v92 offset:4224
	s_waitcnt vmcnt(0) lgkmcnt(0)
	v_mul_f64 v[8:9], v[6:7], v[2:3]
	v_mul_f64 v[2:3], v[4:5], v[2:3]
	v_fmac_f64_e32 v[8:9], v[4:5], v[0:1]
	v_fma_f64 v[0:1], v[0:1], v[6:7], -v[2:3]
	v_mul_f64 v[8:9], v[8:9], s[0:1]
	v_mul_f64 v[10:11], v[0:1], s[0:1]
	v_mad_u64_u32 v[0:1], s[0:1], s8, v93, v[12:13]
	v_add_u32_e32 v1, s2, v1
	global_store_dwordx4 v[0:1], v[8:11], off
.LBB0_23:
	s_endpgm
	.section	.rodata,"a",@progbits
	.p2align	6, 0x0
	.amdhsa_kernel bluestein_single_back_len286_dim1_dp_op_CI_CI
		.amdhsa_group_segment_fixed_size 9152
		.amdhsa_private_segment_fixed_size 0
		.amdhsa_kernarg_size 104
		.amdhsa_user_sgpr_count 2
		.amdhsa_user_sgpr_dispatch_ptr 0
		.amdhsa_user_sgpr_queue_ptr 0
		.amdhsa_user_sgpr_kernarg_segment_ptr 1
		.amdhsa_user_sgpr_dispatch_id 0
		.amdhsa_user_sgpr_kernarg_preload_length 0
		.amdhsa_user_sgpr_kernarg_preload_offset 0
		.amdhsa_user_sgpr_private_segment_size 0
		.amdhsa_uses_dynamic_stack 0
		.amdhsa_enable_private_segment 0
		.amdhsa_system_sgpr_workgroup_id_x 1
		.amdhsa_system_sgpr_workgroup_id_y 0
		.amdhsa_system_sgpr_workgroup_id_z 0
		.amdhsa_system_sgpr_workgroup_info 0
		.amdhsa_system_vgpr_workitem_id 0
		.amdhsa_next_free_vgpr 290
		.amdhsa_next_free_sgpr 50
		.amdhsa_accum_offset 256
		.amdhsa_reserve_vcc 1
		.amdhsa_float_round_mode_32 0
		.amdhsa_float_round_mode_16_64 0
		.amdhsa_float_denorm_mode_32 3
		.amdhsa_float_denorm_mode_16_64 3
		.amdhsa_dx10_clamp 1
		.amdhsa_ieee_mode 1
		.amdhsa_fp16_overflow 0
		.amdhsa_tg_split 0
		.amdhsa_exception_fp_ieee_invalid_op 0
		.amdhsa_exception_fp_denorm_src 0
		.amdhsa_exception_fp_ieee_div_zero 0
		.amdhsa_exception_fp_ieee_overflow 0
		.amdhsa_exception_fp_ieee_underflow 0
		.amdhsa_exception_fp_ieee_inexact 0
		.amdhsa_exception_int_div_zero 0
	.end_amdhsa_kernel
	.text
.Lfunc_end0:
	.size	bluestein_single_back_len286_dim1_dp_op_CI_CI, .Lfunc_end0-bluestein_single_back_len286_dim1_dp_op_CI_CI
                                        ; -- End function
	.section	.AMDGPU.csdata,"",@progbits
; Kernel info:
; codeLenInByte = 18684
; NumSgprs: 56
; NumVgprs: 256
; NumAgprs: 34
; TotalNumVgprs: 290
; ScratchSize: 0
; MemoryBound: 0
; FloatMode: 240
; IeeeMode: 1
; LDSByteSize: 9152 bytes/workgroup (compile time only)
; SGPRBlocks: 6
; VGPRBlocks: 36
; NumSGPRsForWavesPerEU: 56
; NumVGPRsForWavesPerEU: 290
; AccumOffset: 256
; Occupancy: 1
; WaveLimiterHint : 1
; COMPUTE_PGM_RSRC2:SCRATCH_EN: 0
; COMPUTE_PGM_RSRC2:USER_SGPR: 2
; COMPUTE_PGM_RSRC2:TRAP_HANDLER: 0
; COMPUTE_PGM_RSRC2:TGID_X_EN: 1
; COMPUTE_PGM_RSRC2:TGID_Y_EN: 0
; COMPUTE_PGM_RSRC2:TGID_Z_EN: 0
; COMPUTE_PGM_RSRC2:TIDIG_COMP_CNT: 0
; COMPUTE_PGM_RSRC3_GFX90A:ACCUM_OFFSET: 63
; COMPUTE_PGM_RSRC3_GFX90A:TG_SPLIT: 0
	.text
	.p2alignl 6, 3212836864
	.fill 256, 4, 3212836864
	.type	__hip_cuid_16eea41de067b70f,@object ; @__hip_cuid_16eea41de067b70f
	.section	.bss,"aw",@nobits
	.globl	__hip_cuid_16eea41de067b70f
__hip_cuid_16eea41de067b70f:
	.byte	0                               ; 0x0
	.size	__hip_cuid_16eea41de067b70f, 1

	.ident	"AMD clang version 19.0.0git (https://github.com/RadeonOpenCompute/llvm-project roc-6.4.0 25133 c7fe45cf4b819c5991fe208aaa96edf142730f1d)"
	.section	".note.GNU-stack","",@progbits
	.addrsig
	.addrsig_sym __hip_cuid_16eea41de067b70f
	.amdgpu_metadata
---
amdhsa.kernels:
  - .agpr_count:     34
    .args:
      - .actual_access:  read_only
        .address_space:  global
        .offset:         0
        .size:           8
        .value_kind:     global_buffer
      - .actual_access:  read_only
        .address_space:  global
        .offset:         8
        .size:           8
        .value_kind:     global_buffer
      - .actual_access:  read_only
        .address_space:  global
        .offset:         16
        .size:           8
        .value_kind:     global_buffer
      - .actual_access:  read_only
        .address_space:  global
        .offset:         24
        .size:           8
        .value_kind:     global_buffer
      - .actual_access:  read_only
        .address_space:  global
        .offset:         32
        .size:           8
        .value_kind:     global_buffer
      - .offset:         40
        .size:           8
        .value_kind:     by_value
      - .address_space:  global
        .offset:         48
        .size:           8
        .value_kind:     global_buffer
      - .address_space:  global
        .offset:         56
        .size:           8
        .value_kind:     global_buffer
      - .address_space:  global
        .offset:         64
        .size:           8
        .value_kind:     global_buffer
      - .address_space:  global
        .offset:         72
        .size:           8
        .value_kind:     global_buffer
      - .offset:         80
        .size:           4
        .value_kind:     by_value
      - .address_space:  global
        .offset:         88
        .size:           8
        .value_kind:     global_buffer
      - .address_space:  global
        .offset:         96
        .size:           8
        .value_kind:     global_buffer
    .group_segment_fixed_size: 9152
    .kernarg_segment_align: 8
    .kernarg_segment_size: 104
    .language:       OpenCL C
    .language_version:
      - 2
      - 0
    .max_flat_workgroup_size: 52
    .name:           bluestein_single_back_len286_dim1_dp_op_CI_CI
    .private_segment_fixed_size: 0
    .sgpr_count:     56
    .sgpr_spill_count: 0
    .symbol:         bluestein_single_back_len286_dim1_dp_op_CI_CI.kd
    .uniform_work_group_size: 1
    .uses_dynamic_stack: false
    .vgpr_count:     290
    .vgpr_spill_count: 0
    .wavefront_size: 64
amdhsa.target:   amdgcn-amd-amdhsa--gfx950
amdhsa.version:
  - 1
  - 2
...

	.end_amdgpu_metadata
